;; amdgpu-corpus repo=ggml-org/llama.cpp kind=compiled arch=gfx906 opt=O3
	.amdgcn_target "amdgcn-amd-amdhsa--gfx906"
	.amdhsa_code_object_version 6
	.section	.text._ZL25dequantize_block_q8_0_f16ILb0EEvPKvP6__halfl,"axG",@progbits,_ZL25dequantize_block_q8_0_f16ILb0EEvPKvP6__halfl,comdat
	.globl	_ZL25dequantize_block_q8_0_f16ILb0EEvPKvP6__halfl ; -- Begin function _ZL25dequantize_block_q8_0_f16ILb0EEvPKvP6__halfl
	.p2align	8
	.type	_ZL25dequantize_block_q8_0_f16ILb0EEvPKvP6__halfl,@function
_ZL25dequantize_block_q8_0_f16ILb0EEvPKvP6__halfl: ; @_ZL25dequantize_block_q8_0_f16ILb0EEvPKvP6__halfl
; %bb.0:
	s_load_dwordx4 s[0:3], s[4:5], 0x0
	s_lshl_b32 s4, s6, 11
	s_mulk_i32 s6, 0x220
	s_mov_b32 s7, 0
	s_lshl_b64 s[8:9], s[6:7], 2
	s_waitcnt lgkmcnt(0)
	s_add_u32 s0, s0, s8
	s_addc_u32 s1, s1, s9
	v_lshlrev_b32_e32 v1, 2, v0
	global_load_dword v3, v1, s[0:1]
	global_load_dword v4, v1, s[0:1] offset:128
	global_load_dword v5, v1, s[0:1] offset:256
	;; [unrolled: 1-line block ×16, first 2 shown]
	v_lshlrev_b32_e32 v2, 1, v0
	v_and_b32_e32 v20, 15, v0
	v_add_u32_e32 v24, 0x80, v2
	v_lshrrev_b32_e32 v21, 4, v0
	v_lshlrev_b32_e32 v0, 1, v20
	v_add_u32_e32 v20, 64, v2
	v_add_u32_e32 v25, 0xc0, v2
	v_lshrrev_b32_e32 v24, 5, v24
	v_mul_u32_u24_e32 v23, 34, v21
	v_lshrrev_b32_e32 v20, 5, v20
	v_lshrrev_b32_e32 v25, 5, v25
	v_add_u32_e32 v22, 0x400, v1
	v_mad_u32_u24 v21, v21, 34, v0
	v_mul_u32_u24_e32 v27, 34, v20
	v_mad_u32_u24 v20, v20, 34, v0
	s_mov_b32 s5, s7
	s_lshl_b64 s[0:1], s[4:5], 1
	s_add_u32 s0, s2, s0
	s_addc_u32 s1, s3, s1
	v_add_u32_e32 v26, 0x100, v2
	v_lshrrev_b32_e32 v26, 5, v26
	s_waitcnt vmcnt(15)
	ds_write2_b32 v1, v3, v4 offset1:32
	v_mul_u32_u24_e32 v3, 34, v24
	v_mad_u32_u24 v4, v24, 34, v0
	v_mul_u32_u24_e32 v24, 34, v25
	v_mad_u32_u24 v25, v25, 34, v0
	s_waitcnt vmcnt(13)
	ds_write2_b32 v1, v5, v6 offset0:64 offset1:96
	s_waitcnt vmcnt(11)
	ds_write2_b32 v1, v7, v8 offset0:128 offset1:160
	;; [unrolled: 2-line block ×3, first 2 shown]
	s_waitcnt vmcnt(7)
	ds_write2_b32 v22, v11, v12 offset1:32
	s_waitcnt vmcnt(5)
	ds_write2_b32 v22, v13, v14 offset0:64 offset1:96
	s_waitcnt vmcnt(3)
	ds_write2_b32 v22, v15, v16 offset0:128 offset1:160
	;; [unrolled: 2-line block ×3, first 2 shown]
	s_waitcnt vmcnt(0)
	ds_write_b32 v1, v19 offset:2048
	s_waitcnt lgkmcnt(0)
	s_barrier
	ds_read_u16 v5, v23
	ds_read_u16 v6, v21 offset:2
	ds_read_u16 v7, v27
	ds_read_u16 v8, v20 offset:2
	ds_read_u16 v3, v3
	ds_read_u16 v4, v4 offset:2
	ds_read_u16 v9, v24
	ds_read_u16 v10, v25 offset:2
	s_waitcnt lgkmcnt(6)
	v_cvt_f16_i16_sdwa v11, sext(v6) dst_sel:DWORD dst_unused:UNUSED_PAD src0_sel:BYTE_1
	v_cvt_f16_i16_sdwa v6, sext(v6) dst_sel:DWORD dst_unused:UNUSED_PAD src0_sel:BYTE_0
	v_mul_u32_u24_e32 v5, 0x10001, v5
	s_waitcnt lgkmcnt(4)
	v_cvt_f16_i16_sdwa v12, sext(v8) dst_sel:DWORD dst_unused:UNUSED_PAD src0_sel:BYTE_1
	v_cvt_f16_i16_sdwa v8, sext(v8) dst_sel:DWORD dst_unused:UNUSED_PAD src0_sel:BYTE_0
	s_waitcnt lgkmcnt(2)
	v_cvt_f16_i16_sdwa v13, sext(v4) dst_sel:DWORD dst_unused:UNUSED_PAD src0_sel:BYTE_1
	v_cvt_f16_i16_sdwa v4, sext(v4) dst_sel:DWORD dst_unused:UNUSED_PAD src0_sel:BYTE_0
	;; [unrolled: 3-line block ×3, first 2 shown]
	v_pack_b32_f16 v6, v6, v11
	v_mul_u32_u24_e32 v7, 0x10001, v7
	v_mul_u32_u24_e32 v3, 0x10001, v3
	;; [unrolled: 1-line block ×3, first 2 shown]
	v_pack_b32_f16 v8, v8, v12
	v_pack_b32_f16 v4, v4, v13
	;; [unrolled: 1-line block ×3, first 2 shown]
	v_pk_mul_f16 v5, v6, v5
	v_pk_mul_f16 v6, v8, v7
	;; [unrolled: 1-line block ×4, first 2 shown]
	global_store_dword v1, v5, s[0:1]
	global_store_dword v1, v6, s[0:1] offset:128
	global_store_dword v1, v3, s[0:1] offset:256
	;; [unrolled: 1-line block ×3, first 2 shown]
	v_add_u32_e32 v5, 0x140, v2
	v_add_u32_e32 v7, 0x180, v2
	;; [unrolled: 1-line block ×3, first 2 shown]
	v_lshrrev_b32_e32 v5, 5, v5
	v_lshrrev_b32_e32 v7, 5, v7
	v_lshrrev_b32_e32 v9, 5, v9
	v_mul_u32_u24_e32 v3, 34, v26
	v_mad_u32_u24 v4, v26, 34, v0
	v_mul_u32_u24_e32 v6, 34, v5
	v_mad_u32_u24 v5, v5, 34, v0
	v_mul_u32_u24_e32 v8, 34, v7
	v_mad_u32_u24 v7, v7, 34, v0
	v_mul_u32_u24_e32 v10, 34, v9
	v_mad_u32_u24 v9, v9, 34, v0
	ds_read_u16 v3, v3
	ds_read_u16 v4, v4 offset:2
	ds_read_u16 v6, v6
	ds_read_u16 v5, v5 offset:2
	ds_read_u16 v8, v8
	ds_read_u16 v7, v7 offset:2
	ds_read_u16 v10, v10
	ds_read_u16 v9, v9 offset:2
	s_waitcnt lgkmcnt(6)
	v_cvt_f16_i16_sdwa v11, sext(v4) dst_sel:DWORD dst_unused:UNUSED_PAD src0_sel:BYTE_1
	v_cvt_f16_i16_sdwa v4, sext(v4) dst_sel:DWORD dst_unused:UNUSED_PAD src0_sel:BYTE_0
	v_pack_b32_f16 v4, v4, v11
	v_mul_u32_u24_e32 v3, 0x10001, v3
	v_pk_mul_f16 v3, v4, v3
	global_store_dword v1, v3, s[0:1] offset:512
	s_waitcnt lgkmcnt(4)
	v_cvt_f16_i16_sdwa v3, sext(v5) dst_sel:DWORD dst_unused:UNUSED_PAD src0_sel:BYTE_1
	v_cvt_f16_i16_sdwa v4, sext(v5) dst_sel:DWORD dst_unused:UNUSED_PAD src0_sel:BYTE_0
	v_pack_b32_f16 v3, v4, v3
	v_mul_u32_u24_e32 v4, 0x10001, v6
	v_pk_mul_f16 v3, v3, v4
	global_store_dword v1, v3, s[0:1] offset:640
	s_waitcnt lgkmcnt(2)
	v_cvt_f16_i16_sdwa v3, sext(v7) dst_sel:DWORD dst_unused:UNUSED_PAD src0_sel:BYTE_1
	v_cvt_f16_i16_sdwa v4, sext(v7) dst_sel:DWORD dst_unused:UNUSED_PAD src0_sel:BYTE_0
	v_pack_b32_f16 v3, v4, v3
	v_mul_u32_u24_e32 v4, 0x10001, v8
	v_pk_mul_f16 v3, v3, v4
	global_store_dword v1, v3, s[0:1] offset:768
	s_waitcnt lgkmcnt(0)
	v_cvt_f16_i16_sdwa v3, sext(v9) dst_sel:DWORD dst_unused:UNUSED_PAD src0_sel:BYTE_1
	v_cvt_f16_i16_sdwa v4, sext(v9) dst_sel:DWORD dst_unused:UNUSED_PAD src0_sel:BYTE_0
	v_pack_b32_f16 v3, v4, v3
	v_mul_u32_u24_e32 v4, 0x10001, v10
	v_pk_mul_f16 v3, v3, v4
	global_store_dword v1, v3, s[0:1] offset:896
	v_add_u32_e32 v3, 0x200, v2
	v_add_u32_e32 v5, 0x240, v2
	v_add_u32_e32 v7, 0x280, v2
	v_add_u32_e32 v9, 0x2c0, v2
	v_lshrrev_b32_e32 v3, 5, v3
	v_lshrrev_b32_e32 v5, 5, v5
	v_lshrrev_b32_e32 v7, 5, v7
	v_lshrrev_b32_e32 v9, 5, v9
	v_mul_u32_u24_e32 v4, 34, v3
	v_mad_u32_u24 v3, v3, 34, v0
	v_mul_u32_u24_e32 v6, 34, v5
	v_mad_u32_u24 v5, v5, 34, v0
	v_mul_u32_u24_e32 v8, 34, v7
	v_mad_u32_u24 v7, v7, 34, v0
	v_mul_u32_u24_e32 v10, 34, v9
	v_mad_u32_u24 v9, v9, 34, v0
	ds_read_u16 v4, v4
	ds_read_u16 v3, v3 offset:2
	ds_read_u16 v6, v6
	ds_read_u16 v5, v5 offset:2
	ds_read_u16 v8, v8
	ds_read_u16 v7, v7 offset:2
	ds_read_u16 v10, v10
	ds_read_u16 v9, v9 offset:2
	s_waitcnt lgkmcnt(6)
	v_cvt_f16_i16_sdwa v11, sext(v3) dst_sel:DWORD dst_unused:UNUSED_PAD src0_sel:BYTE_1
	v_cvt_f16_i16_sdwa v3, sext(v3) dst_sel:DWORD dst_unused:UNUSED_PAD src0_sel:BYTE_0
	v_pack_b32_f16 v3, v3, v11
	v_mul_u32_u24_e32 v4, 0x10001, v4
	v_pk_mul_f16 v3, v3, v4
	global_store_dword v1, v3, s[0:1] offset:1024
	s_waitcnt lgkmcnt(4)
	v_cvt_f16_i16_sdwa v3, sext(v5) dst_sel:DWORD dst_unused:UNUSED_PAD src0_sel:BYTE_1
	v_cvt_f16_i16_sdwa v4, sext(v5) dst_sel:DWORD dst_unused:UNUSED_PAD src0_sel:BYTE_0
	v_pack_b32_f16 v3, v4, v3
	v_mul_u32_u24_e32 v4, 0x10001, v6
	v_pk_mul_f16 v3, v3, v4
	global_store_dword v1, v3, s[0:1] offset:1152
	s_waitcnt lgkmcnt(2)
	v_cvt_f16_i16_sdwa v3, sext(v7) dst_sel:DWORD dst_unused:UNUSED_PAD src0_sel:BYTE_1
	v_cvt_f16_i16_sdwa v4, sext(v7) dst_sel:DWORD dst_unused:UNUSED_PAD src0_sel:BYTE_0
	v_pack_b32_f16 v3, v4, v3
	v_mul_u32_u24_e32 v4, 0x10001, v8
	v_pk_mul_f16 v3, v3, v4
	global_store_dword v1, v3, s[0:1] offset:1280
	s_waitcnt lgkmcnt(0)
	v_cvt_f16_i16_sdwa v3, sext(v9) dst_sel:DWORD dst_unused:UNUSED_PAD src0_sel:BYTE_1
	v_cvt_f16_i16_sdwa v4, sext(v9) dst_sel:DWORD dst_unused:UNUSED_PAD src0_sel:BYTE_0
	v_pack_b32_f16 v3, v4, v3
	v_mul_u32_u24_e32 v4, 0x10001, v10
	v_pk_mul_f16 v3, v3, v4
	global_store_dword v1, v3, s[0:1] offset:1408
	v_add_u32_e32 v3, 0x300, v2
	v_add_u32_e32 v5, 0x340, v2
	v_add_u32_e32 v7, 0x380, v2
	v_add_u32_e32 v9, 0x3c0, v2
	v_lshrrev_b32_e32 v3, 5, v3
	v_lshrrev_b32_e32 v5, 5, v5
	v_lshrrev_b32_e32 v7, 5, v7
	v_lshrrev_b32_e32 v9, 5, v9
	v_mul_u32_u24_e32 v4, 34, v3
	v_mad_u32_u24 v3, v3, 34, v0
	v_mul_u32_u24_e32 v6, 34, v5
	v_mad_u32_u24 v5, v5, 34, v0
	v_mul_u32_u24_e32 v8, 34, v7
	v_mad_u32_u24 v7, v7, 34, v0
	v_mul_u32_u24_e32 v10, 34, v9
	v_mad_u32_u24 v9, v9, 34, v0
	ds_read_u16 v4, v4
	ds_read_u16 v3, v3 offset:2
	ds_read_u16 v6, v6
	ds_read_u16 v5, v5 offset:2
	ds_read_u16 v8, v8
	ds_read_u16 v7, v7 offset:2
	ds_read_u16 v10, v10
	ds_read_u16 v9, v9 offset:2
	s_waitcnt lgkmcnt(6)
	v_cvt_f16_i16_sdwa v11, sext(v3) dst_sel:DWORD dst_unused:UNUSED_PAD src0_sel:BYTE_1
	v_cvt_f16_i16_sdwa v3, sext(v3) dst_sel:DWORD dst_unused:UNUSED_PAD src0_sel:BYTE_0
	v_pack_b32_f16 v3, v3, v11
	v_mul_u32_u24_e32 v4, 0x10001, v4
	v_pk_mul_f16 v3, v3, v4
	global_store_dword v1, v3, s[0:1] offset:1536
	s_waitcnt lgkmcnt(4)
	v_cvt_f16_i16_sdwa v3, sext(v5) dst_sel:DWORD dst_unused:UNUSED_PAD src0_sel:BYTE_1
	v_cvt_f16_i16_sdwa v4, sext(v5) dst_sel:DWORD dst_unused:UNUSED_PAD src0_sel:BYTE_0
	v_pack_b32_f16 v3, v4, v3
	v_mul_u32_u24_e32 v4, 0x10001, v6
	v_pk_mul_f16 v3, v3, v4
	global_store_dword v1, v3, s[0:1] offset:1664
	s_waitcnt lgkmcnt(2)
	v_cvt_f16_i16_sdwa v3, sext(v7) dst_sel:DWORD dst_unused:UNUSED_PAD src0_sel:BYTE_1
	v_cvt_f16_i16_sdwa v4, sext(v7) dst_sel:DWORD dst_unused:UNUSED_PAD src0_sel:BYTE_0
	v_pack_b32_f16 v3, v4, v3
	v_mul_u32_u24_e32 v4, 0x10001, v8
	v_pk_mul_f16 v3, v3, v4
	global_store_dword v1, v3, s[0:1] offset:1792
	s_waitcnt lgkmcnt(0)
	v_cvt_f16_i16_sdwa v3, sext(v9) dst_sel:DWORD dst_unused:UNUSED_PAD src0_sel:BYTE_1
	v_cvt_f16_i16_sdwa v4, sext(v9) dst_sel:DWORD dst_unused:UNUSED_PAD src0_sel:BYTE_0
	v_pack_b32_f16 v3, v4, v3
	v_mul_u32_u24_e32 v4, 0x10001, v10
	v_pk_mul_f16 v3, v3, v4
	global_store_dword v1, v3, s[0:1] offset:1920
	v_add_u32_e32 v3, 0x400, v2
	v_add_u32_e32 v5, 0x440, v2
	v_add_u32_e32 v7, 0x480, v2
	v_add_u32_e32 v9, 0x4c0, v2
	v_lshrrev_b32_e32 v3, 5, v3
	v_lshrrev_b32_e32 v5, 5, v5
	v_lshrrev_b32_e32 v7, 5, v7
	v_lshrrev_b32_e32 v9, 5, v9
	v_mul_u32_u24_e32 v4, 34, v3
	v_mad_u32_u24 v3, v3, 34, v0
	v_mul_u32_u24_e32 v6, 34, v5
	v_mad_u32_u24 v5, v5, 34, v0
	v_mul_u32_u24_e32 v8, 34, v7
	v_mad_u32_u24 v7, v7, 34, v0
	v_mul_u32_u24_e32 v10, 34, v9
	v_mad_u32_u24 v9, v9, 34, v0
	ds_read_u16 v4, v4
	ds_read_u16 v3, v3 offset:2
	ds_read_u16 v6, v6
	ds_read_u16 v5, v5 offset:2
	ds_read_u16 v8, v8
	ds_read_u16 v7, v7 offset:2
	ds_read_u16 v10, v10
	ds_read_u16 v9, v9 offset:2
	s_waitcnt lgkmcnt(6)
	v_cvt_f16_i16_sdwa v11, sext(v3) dst_sel:DWORD dst_unused:UNUSED_PAD src0_sel:BYTE_1
	v_cvt_f16_i16_sdwa v3, sext(v3) dst_sel:DWORD dst_unused:UNUSED_PAD src0_sel:BYTE_0
	v_pack_b32_f16 v3, v3, v11
	v_mul_u32_u24_e32 v4, 0x10001, v4
	v_pk_mul_f16 v3, v3, v4
	global_store_dword v1, v3, s[0:1] offset:2048
	s_waitcnt lgkmcnt(4)
	v_cvt_f16_i16_sdwa v3, sext(v5) dst_sel:DWORD dst_unused:UNUSED_PAD src0_sel:BYTE_1
	v_cvt_f16_i16_sdwa v4, sext(v5) dst_sel:DWORD dst_unused:UNUSED_PAD src0_sel:BYTE_0
	v_pack_b32_f16 v3, v4, v3
	v_mul_u32_u24_e32 v4, 0x10001, v6
	v_pk_mul_f16 v3, v3, v4
	global_store_dword v1, v3, s[0:1] offset:2176
	s_waitcnt lgkmcnt(2)
	v_cvt_f16_i16_sdwa v3, sext(v7) dst_sel:DWORD dst_unused:UNUSED_PAD src0_sel:BYTE_1
	v_cvt_f16_i16_sdwa v4, sext(v7) dst_sel:DWORD dst_unused:UNUSED_PAD src0_sel:BYTE_0
	v_pack_b32_f16 v3, v4, v3
	v_mul_u32_u24_e32 v4, 0x10001, v8
	v_pk_mul_f16 v3, v3, v4
	global_store_dword v1, v3, s[0:1] offset:2304
	s_waitcnt lgkmcnt(0)
	v_cvt_f16_i16_sdwa v3, sext(v9) dst_sel:DWORD dst_unused:UNUSED_PAD src0_sel:BYTE_1
	v_cvt_f16_i16_sdwa v4, sext(v9) dst_sel:DWORD dst_unused:UNUSED_PAD src0_sel:BYTE_0
	v_pack_b32_f16 v3, v4, v3
	v_mul_u32_u24_e32 v4, 0x10001, v10
	v_pk_mul_f16 v3, v3, v4
	global_store_dword v1, v3, s[0:1] offset:2432
	v_add_u32_e32 v3, 0x500, v2
	v_add_u32_e32 v5, 0x540, v2
	v_add_u32_e32 v7, 0x580, v2
	v_add_u32_e32 v9, 0x5c0, v2
	v_lshrrev_b32_e32 v3, 5, v3
	v_lshrrev_b32_e32 v5, 5, v5
	v_lshrrev_b32_e32 v7, 5, v7
	v_lshrrev_b32_e32 v9, 5, v9
	v_mul_u32_u24_e32 v4, 34, v3
	v_mad_u32_u24 v3, v3, 34, v0
	v_mul_u32_u24_e32 v6, 34, v5
	v_mad_u32_u24 v5, v5, 34, v0
	v_mul_u32_u24_e32 v8, 34, v7
	v_mad_u32_u24 v7, v7, 34, v0
	v_mul_u32_u24_e32 v10, 34, v9
	v_mad_u32_u24 v9, v9, 34, v0
	ds_read_u16 v4, v4
	ds_read_u16 v3, v3 offset:2
	ds_read_u16 v6, v6
	ds_read_u16 v5, v5 offset:2
	ds_read_u16 v8, v8
	ds_read_u16 v7, v7 offset:2
	ds_read_u16 v10, v10
	ds_read_u16 v9, v9 offset:2
	s_waitcnt lgkmcnt(6)
	v_cvt_f16_i16_sdwa v11, sext(v3) dst_sel:DWORD dst_unused:UNUSED_PAD src0_sel:BYTE_1
	v_cvt_f16_i16_sdwa v3, sext(v3) dst_sel:DWORD dst_unused:UNUSED_PAD src0_sel:BYTE_0
	v_pack_b32_f16 v3, v3, v11
	v_mul_u32_u24_e32 v4, 0x10001, v4
	v_pk_mul_f16 v3, v3, v4
	global_store_dword v1, v3, s[0:1] offset:2560
	s_waitcnt lgkmcnt(4)
	v_cvt_f16_i16_sdwa v3, sext(v5) dst_sel:DWORD dst_unused:UNUSED_PAD src0_sel:BYTE_1
	v_cvt_f16_i16_sdwa v4, sext(v5) dst_sel:DWORD dst_unused:UNUSED_PAD src0_sel:BYTE_0
	v_pack_b32_f16 v3, v4, v3
	v_mul_u32_u24_e32 v4, 0x10001, v6
	v_pk_mul_f16 v3, v3, v4
	global_store_dword v1, v3, s[0:1] offset:2688
	s_waitcnt lgkmcnt(2)
	v_cvt_f16_i16_sdwa v3, sext(v7) dst_sel:DWORD dst_unused:UNUSED_PAD src0_sel:BYTE_1
	v_cvt_f16_i16_sdwa v4, sext(v7) dst_sel:DWORD dst_unused:UNUSED_PAD src0_sel:BYTE_0
	v_pack_b32_f16 v3, v4, v3
	v_mul_u32_u24_e32 v4, 0x10001, v8
	v_pk_mul_f16 v3, v3, v4
	global_store_dword v1, v3, s[0:1] offset:2816
	s_waitcnt lgkmcnt(0)
	v_cvt_f16_i16_sdwa v3, sext(v9) dst_sel:DWORD dst_unused:UNUSED_PAD src0_sel:BYTE_1
	v_cvt_f16_i16_sdwa v4, sext(v9) dst_sel:DWORD dst_unused:UNUSED_PAD src0_sel:BYTE_0
	v_pack_b32_f16 v3, v4, v3
	v_mul_u32_u24_e32 v4, 0x10001, v10
	v_pk_mul_f16 v3, v3, v4
	global_store_dword v1, v3, s[0:1] offset:2944
	v_add_u32_e32 v3, 0x600, v2
	v_add_u32_e32 v5, 0x640, v2
	v_add_u32_e32 v7, 0x680, v2
	v_add_u32_e32 v9, 0x6c0, v2
	v_lshrrev_b32_e32 v3, 5, v3
	v_lshrrev_b32_e32 v5, 5, v5
	v_lshrrev_b32_e32 v7, 5, v7
	v_lshrrev_b32_e32 v9, 5, v9
	v_mul_u32_u24_e32 v4, 34, v3
	v_mad_u32_u24 v3, v3, 34, v0
	v_mul_u32_u24_e32 v6, 34, v5
	v_mad_u32_u24 v5, v5, 34, v0
	v_mul_u32_u24_e32 v8, 34, v7
	v_mad_u32_u24 v7, v7, 34, v0
	v_mul_u32_u24_e32 v10, 34, v9
	v_mad_u32_u24 v9, v9, 34, v0
	ds_read_u16 v4, v4
	ds_read_u16 v3, v3 offset:2
	ds_read_u16 v6, v6
	ds_read_u16 v5, v5 offset:2
	ds_read_u16 v8, v8
	ds_read_u16 v7, v7 offset:2
	ds_read_u16 v10, v10
	ds_read_u16 v9, v9 offset:2
	s_waitcnt lgkmcnt(6)
	v_cvt_f16_i16_sdwa v11, sext(v3) dst_sel:DWORD dst_unused:UNUSED_PAD src0_sel:BYTE_1
	v_cvt_f16_i16_sdwa v3, sext(v3) dst_sel:DWORD dst_unused:UNUSED_PAD src0_sel:BYTE_0
	v_pack_b32_f16 v3, v3, v11
	v_mul_u32_u24_e32 v4, 0x10001, v4
	v_pk_mul_f16 v3, v3, v4
	global_store_dword v1, v3, s[0:1] offset:3072
	s_waitcnt lgkmcnt(4)
	v_cvt_f16_i16_sdwa v3, sext(v5) dst_sel:DWORD dst_unused:UNUSED_PAD src0_sel:BYTE_1
	v_cvt_f16_i16_sdwa v4, sext(v5) dst_sel:DWORD dst_unused:UNUSED_PAD src0_sel:BYTE_0
	v_pack_b32_f16 v3, v4, v3
	v_mul_u32_u24_e32 v4, 0x10001, v6
	v_pk_mul_f16 v3, v3, v4
	global_store_dword v1, v3, s[0:1] offset:3200
	s_waitcnt lgkmcnt(2)
	v_cvt_f16_i16_sdwa v3, sext(v7) dst_sel:DWORD dst_unused:UNUSED_PAD src0_sel:BYTE_1
	v_cvt_f16_i16_sdwa v4, sext(v7) dst_sel:DWORD dst_unused:UNUSED_PAD src0_sel:BYTE_0
	v_pack_b32_f16 v3, v4, v3
	v_mul_u32_u24_e32 v4, 0x10001, v8
	v_pk_mul_f16 v3, v3, v4
	global_store_dword v1, v3, s[0:1] offset:3328
	s_waitcnt lgkmcnt(0)
	v_cvt_f16_i16_sdwa v3, sext(v9) dst_sel:DWORD dst_unused:UNUSED_PAD src0_sel:BYTE_1
	v_cvt_f16_i16_sdwa v4, sext(v9) dst_sel:DWORD dst_unused:UNUSED_PAD src0_sel:BYTE_0
	v_pack_b32_f16 v3, v4, v3
	v_mul_u32_u24_e32 v4, 0x10001, v10
	v_pk_mul_f16 v3, v3, v4
	global_store_dword v1, v3, s[0:1] offset:3456
	v_add_u32_e32 v3, 0x700, v2
	v_add_u32_e32 v5, 0x740, v2
	v_add_u32_e32 v7, 0x780, v2
	v_add_u32_e32 v2, 0x7c0, v2
	v_lshrrev_b32_e32 v3, 5, v3
	v_lshrrev_b32_e32 v5, 5, v5
	v_lshrrev_b32_e32 v7, 5, v7
	;; [unrolled: 1-line block ×3, first 2 shown]
	v_mul_u32_u24_e32 v4, 34, v3
	v_mad_u32_u24 v3, v3, 34, v0
	v_mul_u32_u24_e32 v6, 34, v5
	v_mad_u32_u24 v5, v5, 34, v0
	;; [unrolled: 2-line block ×3, first 2 shown]
	v_mad_u32_u24 v0, v2, 34, v0
	v_mul_u32_u24_e32 v9, 34, v2
	ds_read_u16 v2, v4
	ds_read_u16 v3, v3 offset:2
	ds_read_u16 v4, v6
	ds_read_u16 v5, v5 offset:2
	;; [unrolled: 2-line block ×4, first 2 shown]
	s_waitcnt lgkmcnt(6)
	v_cvt_f16_i16_sdwa v9, sext(v3) dst_sel:DWORD dst_unused:UNUSED_PAD src0_sel:BYTE_1
	v_cvt_f16_i16_sdwa v3, sext(v3) dst_sel:DWORD dst_unused:UNUSED_PAD src0_sel:BYTE_0
	v_pack_b32_f16 v3, v3, v9
	v_mul_u32_u24_e32 v2, 0x10001, v2
	v_pk_mul_f16 v2, v3, v2
	global_store_dword v1, v2, s[0:1] offset:3584
	s_waitcnt lgkmcnt(4)
	v_cvt_f16_i16_sdwa v2, sext(v5) dst_sel:DWORD dst_unused:UNUSED_PAD src0_sel:BYTE_1
	v_cvt_f16_i16_sdwa v3, sext(v5) dst_sel:DWORD dst_unused:UNUSED_PAD src0_sel:BYTE_0
	v_pack_b32_f16 v2, v3, v2
	v_mul_u32_u24_e32 v3, 0x10001, v4
	v_pk_mul_f16 v2, v2, v3
	global_store_dword v1, v2, s[0:1] offset:3712
	;; [unrolled: 7-line block ×4, first 2 shown]
	s_endpgm
	.section	.rodata,"a",@progbits
	.p2align	6, 0x0
	.amdhsa_kernel _ZL25dequantize_block_q8_0_f16ILb0EEvPKvP6__halfl
		.amdhsa_group_segment_fixed_size 2176
		.amdhsa_private_segment_fixed_size 0
		.amdhsa_kernarg_size 24
		.amdhsa_user_sgpr_count 6
		.amdhsa_user_sgpr_private_segment_buffer 1
		.amdhsa_user_sgpr_dispatch_ptr 0
		.amdhsa_user_sgpr_queue_ptr 0
		.amdhsa_user_sgpr_kernarg_segment_ptr 1
		.amdhsa_user_sgpr_dispatch_id 0
		.amdhsa_user_sgpr_flat_scratch_init 0
		.amdhsa_user_sgpr_private_segment_size 0
		.amdhsa_uses_dynamic_stack 0
		.amdhsa_system_sgpr_private_segment_wavefront_offset 0
		.amdhsa_system_sgpr_workgroup_id_x 1
		.amdhsa_system_sgpr_workgroup_id_y 0
		.amdhsa_system_sgpr_workgroup_id_z 0
		.amdhsa_system_sgpr_workgroup_info 0
		.amdhsa_system_vgpr_workitem_id 0
		.amdhsa_next_free_vgpr 29
		.amdhsa_next_free_sgpr 61
		.amdhsa_reserve_vcc 0
		.amdhsa_reserve_flat_scratch 0
		.amdhsa_float_round_mode_32 0
		.amdhsa_float_round_mode_16_64 0
		.amdhsa_float_denorm_mode_32 3
		.amdhsa_float_denorm_mode_16_64 3
		.amdhsa_dx10_clamp 1
		.amdhsa_ieee_mode 1
		.amdhsa_fp16_overflow 0
		.amdhsa_exception_fp_ieee_invalid_op 0
		.amdhsa_exception_fp_denorm_src 0
		.amdhsa_exception_fp_ieee_div_zero 0
		.amdhsa_exception_fp_ieee_overflow 0
		.amdhsa_exception_fp_ieee_underflow 0
		.amdhsa_exception_fp_ieee_inexact 0
		.amdhsa_exception_int_div_zero 0
	.end_amdhsa_kernel
	.section	.text._ZL25dequantize_block_q8_0_f16ILb0EEvPKvP6__halfl,"axG",@progbits,_ZL25dequantize_block_q8_0_f16ILb0EEvPKvP6__halfl,comdat
.Lfunc_end0:
	.size	_ZL25dequantize_block_q8_0_f16ILb0EEvPKvP6__halfl, .Lfunc_end0-_ZL25dequantize_block_q8_0_f16ILb0EEvPKvP6__halfl
                                        ; -- End function
	.set _ZL25dequantize_block_q8_0_f16ILb0EEvPKvP6__halfl.num_vgpr, 28
	.set _ZL25dequantize_block_q8_0_f16ILb0EEvPKvP6__halfl.num_agpr, 0
	.set _ZL25dequantize_block_q8_0_f16ILb0EEvPKvP6__halfl.numbered_sgpr, 10
	.set _ZL25dequantize_block_q8_0_f16ILb0EEvPKvP6__halfl.num_named_barrier, 0
	.set _ZL25dequantize_block_q8_0_f16ILb0EEvPKvP6__halfl.private_seg_size, 0
	.set _ZL25dequantize_block_q8_0_f16ILb0EEvPKvP6__halfl.uses_vcc, 0
	.set _ZL25dequantize_block_q8_0_f16ILb0EEvPKvP6__halfl.uses_flat_scratch, 0
	.set _ZL25dequantize_block_q8_0_f16ILb0EEvPKvP6__halfl.has_dyn_sized_stack, 0
	.set _ZL25dequantize_block_q8_0_f16ILb0EEvPKvP6__halfl.has_recursion, 0
	.set _ZL25dequantize_block_q8_0_f16ILb0EEvPKvP6__halfl.has_indirect_call, 0
	.section	.AMDGPU.csdata,"",@progbits
; Kernel info:
; codeLenInByte = 3264
; TotalNumSgprs: 14
; NumVgprs: 28
; ScratchSize: 0
; MemoryBound: 0
; FloatMode: 240
; IeeeMode: 1
; LDSByteSize: 2176 bytes/workgroup (compile time only)
; SGPRBlocks: 8
; VGPRBlocks: 7
; NumSGPRsForWavesPerEU: 65
; NumVGPRsForWavesPerEU: 29
; Occupancy: 8
; WaveLimiterHint : 1
; COMPUTE_PGM_RSRC2:SCRATCH_EN: 0
; COMPUTE_PGM_RSRC2:USER_SGPR: 6
; COMPUTE_PGM_RSRC2:TRAP_HANDLER: 0
; COMPUTE_PGM_RSRC2:TGID_X_EN: 1
; COMPUTE_PGM_RSRC2:TGID_Y_EN: 0
; COMPUTE_PGM_RSRC2:TGID_Z_EN: 0
; COMPUTE_PGM_RSRC2:TIDIG_COMP_CNT: 0
	.section	.text._ZL25dequantize_block_q8_0_f16ILb1EEvPKvP6__halfl,"axG",@progbits,_ZL25dequantize_block_q8_0_f16ILb1EEvPKvP6__halfl,comdat
	.globl	_ZL25dequantize_block_q8_0_f16ILb1EEvPKvP6__halfl ; -- Begin function _ZL25dequantize_block_q8_0_f16ILb1EEvPKvP6__halfl
	.p2align	8
	.type	_ZL25dequantize_block_q8_0_f16ILb1EEvPKvP6__halfl,@function
_ZL25dequantize_block_q8_0_f16ILb1EEvPKvP6__halfl: ; @_ZL25dequantize_block_q8_0_f16ILb1EEvPKvP6__halfl
; %bb.0:
	s_load_dwordx2 s[0:1], s[4:5], 0x10
	s_lshl_b32 s2, s6, 11
	s_mul_i32 s8, s6, 0x11000
	s_mul_hi_u32 s9, s2, 34
	s_lshr_b64 s[8:9], s[8:9], 5
	s_waitcnt lgkmcnt(0)
	s_mul_i32 s3, s1, 34
	s_mul_hi_u32 s7, s0, 34
	v_lshlrev_b32_e32 v4, 2, v0
	s_add_i32 s11, s7, s3
	s_mul_i32 s10, s0, 34
	v_mov_b32_e32 v2, s9
	v_add_co_u32_e32 v1, vcc, s8, v4
	s_lshr_b64 s[12:13], s[10:11], 5
	v_addc_co_u32_e32 v2, vcc, 0, v2, vcc
	v_cmp_gt_u64_e32 vcc, s[12:13], v[1:2]
	s_mov_b32 s3, 0
	s_and_saveexec_b64 s[10:11], vcc
	s_cbranch_execz .LBB1_18
; %bb.1:
	s_load_dwordx2 s[14:15], s[4:5], 0x0
	s_mulk_i32 s6, 0x220
	s_mov_b32 s7, s3
	s_lshl_b64 s[6:7], s[6:7], 2
	v_add_u32_e32 v1, 0x80, v4
	s_waitcnt lgkmcnt(0)
	s_add_u32 s6, s14, s6
	s_addc_u32 s7, s15, s7
	global_load_dword v3, v4, s[6:7]
	v_mov_b32_e32 v2, s9
	v_add_co_u32_e32 v1, vcc, s8, v1
	v_addc_co_u32_e32 v2, vcc, 0, v2, vcc
	v_cmp_gt_u64_e32 vcc, s[12:13], v[1:2]
	s_waitcnt vmcnt(0)
	ds_write_b32 v4, v3
	s_and_b64 exec, exec, vcc
	s_cbranch_execz .LBB1_18
; %bb.2:
	v_mov_b32_e32 v2, s7
	v_add_co_u32_e32 v1, vcc, s6, v4
	v_addc_co_u32_e32 v2, vcc, 0, v2, vcc
	global_load_dword v3, v[1:2], off offset:128
	v_mov_b32_e32 v5, 0x100
	v_lshl_add_u32 v5, v0, 2, v5
	v_mov_b32_e32 v6, s9
	v_add_co_u32_e32 v5, vcc, s8, v5
	v_addc_co_u32_e32 v6, vcc, 0, v6, vcc
	v_cmp_gt_u64_e32 vcc, s[12:13], v[5:6]
	s_waitcnt vmcnt(0)
	ds_write_b32 v4, v3 offset:128
	s_and_b64 exec, exec, vcc
	s_cbranch_execz .LBB1_18
; %bb.3:
	global_load_dword v3, v[1:2], off offset:256
	v_mov_b32_e32 v5, 0x180
	v_lshl_add_u32 v5, v0, 2, v5
	v_mov_b32_e32 v6, s9
	v_add_co_u32_e32 v5, vcc, s8, v5
	v_addc_co_u32_e32 v6, vcc, 0, v6, vcc
	v_cmp_gt_u64_e32 vcc, s[12:13], v[5:6]
	s_waitcnt vmcnt(0)
	ds_write_b32 v4, v3 offset:256
	s_and_b64 exec, exec, vcc
	s_cbranch_execz .LBB1_18
; %bb.4:
	global_load_dword v3, v[1:2], off offset:384
	v_mov_b32_e32 v5, 0x200
	v_lshl_add_u32 v5, v0, 2, v5
	v_mov_b32_e32 v6, s9
	v_add_co_u32_e32 v5, vcc, s8, v5
	v_addc_co_u32_e32 v6, vcc, 0, v6, vcc
	v_cmp_gt_u64_e32 vcc, s[12:13], v[5:6]
	s_waitcnt vmcnt(0)
	ds_write_b32 v4, v3 offset:384
	s_and_b64 exec, exec, vcc
	s_cbranch_execz .LBB1_18
; %bb.5:
	global_load_dword v3, v[1:2], off offset:512
	v_mov_b32_e32 v5, 0x280
	v_lshl_add_u32 v5, v0, 2, v5
	v_mov_b32_e32 v6, s9
	v_add_co_u32_e32 v5, vcc, s8, v5
	v_addc_co_u32_e32 v6, vcc, 0, v6, vcc
	v_cmp_gt_u64_e32 vcc, s[12:13], v[5:6]
	s_waitcnt vmcnt(0)
	ds_write_b32 v4, v3 offset:512
	s_and_b64 exec, exec, vcc
	s_cbranch_execz .LBB1_18
; %bb.6:
	global_load_dword v3, v[1:2], off offset:640
	v_mov_b32_e32 v5, 0x300
	v_lshl_add_u32 v5, v0, 2, v5
	v_mov_b32_e32 v6, s9
	v_add_co_u32_e32 v5, vcc, s8, v5
	v_addc_co_u32_e32 v6, vcc, 0, v6, vcc
	v_cmp_gt_u64_e32 vcc, s[12:13], v[5:6]
	s_waitcnt vmcnt(0)
	ds_write_b32 v4, v3 offset:640
	s_and_b64 exec, exec, vcc
	s_cbranch_execz .LBB1_18
; %bb.7:
	global_load_dword v3, v[1:2], off offset:768
	v_mov_b32_e32 v5, 0x380
	v_lshl_add_u32 v5, v0, 2, v5
	v_mov_b32_e32 v6, s9
	v_add_co_u32_e32 v5, vcc, s8, v5
	v_addc_co_u32_e32 v6, vcc, 0, v6, vcc
	v_cmp_gt_u64_e32 vcc, s[12:13], v[5:6]
	s_waitcnt vmcnt(0)
	ds_write_b32 v4, v3 offset:768
	s_and_b64 exec, exec, vcc
	s_cbranch_execz .LBB1_18
; %bb.8:
	global_load_dword v3, v[1:2], off offset:896
	v_mov_b32_e32 v5, 0x400
	v_lshl_add_u32 v5, v0, 2, v5
	v_mov_b32_e32 v6, s9
	v_add_co_u32_e32 v5, vcc, s8, v5
	v_addc_co_u32_e32 v6, vcc, 0, v6, vcc
	v_cmp_gt_u64_e32 vcc, s[12:13], v[5:6]
	s_waitcnt vmcnt(0)
	ds_write_b32 v4, v3 offset:896
	s_and_b64 exec, exec, vcc
	s_cbranch_execz .LBB1_18
; %bb.9:
	global_load_dword v3, v[1:2], off offset:1024
	v_mov_b32_e32 v5, 0x480
	v_lshl_add_u32 v5, v0, 2, v5
	v_mov_b32_e32 v6, s9
	v_add_co_u32_e32 v5, vcc, s8, v5
	v_addc_co_u32_e32 v6, vcc, 0, v6, vcc
	v_cmp_gt_u64_e32 vcc, s[12:13], v[5:6]
	s_waitcnt vmcnt(0)
	ds_write_b32 v4, v3 offset:1024
	s_and_b64 exec, exec, vcc
	s_cbranch_execz .LBB1_18
; %bb.10:
	global_load_dword v3, v[1:2], off offset:1152
	v_mov_b32_e32 v5, 0x500
	v_lshl_add_u32 v5, v0, 2, v5
	v_mov_b32_e32 v6, s9
	v_add_co_u32_e32 v5, vcc, s8, v5
	v_addc_co_u32_e32 v6, vcc, 0, v6, vcc
	v_cmp_gt_u64_e32 vcc, s[12:13], v[5:6]
	s_waitcnt vmcnt(0)
	ds_write_b32 v4, v3 offset:1152
	s_and_b64 exec, exec, vcc
	s_cbranch_execz .LBB1_18
; %bb.11:
	global_load_dword v3, v[1:2], off offset:1280
	v_mov_b32_e32 v5, 0x580
	v_lshl_add_u32 v5, v0, 2, v5
	v_mov_b32_e32 v6, s9
	v_add_co_u32_e32 v5, vcc, s8, v5
	v_addc_co_u32_e32 v6, vcc, 0, v6, vcc
	v_cmp_gt_u64_e32 vcc, s[12:13], v[5:6]
	s_waitcnt vmcnt(0)
	ds_write_b32 v4, v3 offset:1280
	s_and_b64 exec, exec, vcc
	s_cbranch_execz .LBB1_18
; %bb.12:
	global_load_dword v3, v[1:2], off offset:1408
	v_mov_b32_e32 v5, 0x600
	v_lshl_add_u32 v5, v0, 2, v5
	v_mov_b32_e32 v6, s9
	v_add_co_u32_e32 v5, vcc, s8, v5
	v_addc_co_u32_e32 v6, vcc, 0, v6, vcc
	v_cmp_gt_u64_e32 vcc, s[12:13], v[5:6]
	s_waitcnt vmcnt(0)
	ds_write_b32 v4, v3 offset:1408
	s_and_b64 exec, exec, vcc
	s_cbranch_execz .LBB1_18
; %bb.13:
	global_load_dword v3, v[1:2], off offset:1536
	v_mov_b32_e32 v5, 0x680
	v_lshl_add_u32 v5, v0, 2, v5
	v_mov_b32_e32 v6, s9
	v_add_co_u32_e32 v5, vcc, s8, v5
	v_addc_co_u32_e32 v6, vcc, 0, v6, vcc
	v_cmp_gt_u64_e32 vcc, s[12:13], v[5:6]
	s_waitcnt vmcnt(0)
	ds_write_b32 v4, v3 offset:1536
	s_and_b64 exec, exec, vcc
	s_cbranch_execz .LBB1_18
; %bb.14:
	global_load_dword v3, v[1:2], off offset:1664
	v_mov_b32_e32 v5, 0x700
	v_lshl_add_u32 v5, v0, 2, v5
	v_mov_b32_e32 v6, s9
	v_add_co_u32_e32 v5, vcc, s8, v5
	v_addc_co_u32_e32 v6, vcc, 0, v6, vcc
	v_cmp_gt_u64_e32 vcc, s[12:13], v[5:6]
	s_waitcnt vmcnt(0)
	ds_write_b32 v4, v3 offset:1664
	s_and_b64 exec, exec, vcc
	s_cbranch_execz .LBB1_18
; %bb.15:
	global_load_dword v3, v[1:2], off offset:1792
	v_mov_b32_e32 v5, 0x780
	v_lshl_add_u32 v5, v0, 2, v5
	v_mov_b32_e32 v6, s9
	v_add_co_u32_e32 v5, vcc, s8, v5
	v_addc_co_u32_e32 v6, vcc, 0, v6, vcc
	v_cmp_gt_u64_e32 vcc, s[12:13], v[5:6]
	s_waitcnt vmcnt(0)
	ds_write_b32 v4, v3 offset:1792
	s_and_b64 exec, exec, vcc
	s_cbranch_execz .LBB1_18
; %bb.16:
	global_load_dword v3, v[1:2], off offset:1920
	v_mov_b32_e32 v5, 0x800
	v_lshl_add_u32 v5, v0, 2, v5
	v_mov_b32_e32 v6, s9
	v_add_co_u32_e32 v5, vcc, s8, v5
	v_addc_co_u32_e32 v6, vcc, 0, v6, vcc
	v_cmp_gt_u64_e32 vcc, s[12:13], v[5:6]
	s_waitcnt vmcnt(0)
	ds_write_b32 v4, v3 offset:1920
	s_and_b64 exec, exec, vcc
	s_cbranch_execz .LBB1_18
; %bb.17:
	global_load_dword v1, v[1:2], off offset:2048
	s_waitcnt vmcnt(0)
	ds_write_b32 v4, v1 offset:2048
.LBB1_18:
	s_or_b64 exec, exec, s[10:11]
	v_lshlrev_b32_e32 v2, 1, v0
	v_or_b32_e32 v5, s2, v2
	v_mov_b32_e32 v6, 0
	v_cmp_gt_i64_e32 vcc, s[0:1], v[5:6]
	s_waitcnt lgkmcnt(0)
	s_barrier
	s_and_saveexec_b64 s[6:7], vcc
	s_cbranch_execz .LBB1_51
; %bb.19:
	v_and_b32_e32 v1, 15, v0
	v_lshrrev_b32_e32 v0, 4, v0
	v_lshlrev_b32_e32 v3, 1, v1
	s_load_dwordx2 s[4:5], s[4:5], 0x8
	v_mul_u32_u24_e32 v5, 34, v0
	v_mad_u32_u24 v0, v0, 34, v3
	ds_read_u16 v0, v0 offset:2
	ds_read_u16 v1, v5
	s_lshl_b64 s[6:7], s[2:3], 1
	s_waitcnt lgkmcnt(0)
	s_add_u32 s4, s4, s6
	s_addc_u32 s5, s5, s7
	v_cvt_f16_i16_sdwa v5, sext(v0) dst_sel:DWORD dst_unused:UNUSED_PAD src0_sel:BYTE_1
	v_cvt_f16_i16_sdwa v0, sext(v0) dst_sel:DWORD dst_unused:UNUSED_PAD src0_sel:BYTE_0
	v_pack_b32_f16 v0, v0, v5
	v_mul_u32_u24_e32 v1, 0x10001, v1
	s_or_b32 s3, s2, 64
	v_pk_mul_f16 v5, v0, v1
	v_add_co_u32_e32 v0, vcc, s3, v2
	v_addc_co_u32_e64 v1, s[6:7], 0, 0, vcc
	v_cmp_gt_u64_e32 vcc, s[0:1], v[0:1]
	global_store_dword v4, v5, s[4:5]
	s_and_b64 exec, exec, vcc
	s_cbranch_execz .LBB1_51
; %bb.20:
	v_add_u32_e32 v0, 64, v2
	v_lshrrev_b32_e32 v0, 5, v0
	v_mul_u32_u24_e32 v5, 34, v0
	v_mad_u32_u24 v0, v0, 34, v3
	ds_read_u16 v5, v5
	ds_read_u16 v6, v0 offset:2
	v_mov_b32_e32 v1, s5
	v_add_co_u32_e32 v0, vcc, s4, v4
	v_addc_co_u32_e32 v1, vcc, 0, v1, vcc
	s_waitcnt lgkmcnt(0)
	v_cvt_f16_i16_sdwa v4, sext(v6) dst_sel:DWORD dst_unused:UNUSED_PAD src0_sel:BYTE_1
	v_cvt_f16_i16_sdwa v6, sext(v6) dst_sel:DWORD dst_unused:UNUSED_PAD src0_sel:BYTE_0
	v_pack_b32_f16 v4, v6, v4
	v_mul_u32_u24_e32 v5, 0x10001, v5
	s_or_b32 s3, s2, 0x80
	v_pk_mul_f16 v6, v4, v5
	v_add_co_u32_e32 v4, vcc, s3, v2
	v_addc_co_u32_e64 v5, s[4:5], 0, 0, vcc
	v_cmp_gt_u64_e32 vcc, s[0:1], v[4:5]
	global_store_dword v[0:1], v6, off offset:128
	s_and_b64 exec, exec, vcc
	s_cbranch_execz .LBB1_51
; %bb.21:
	v_add_u32_e32 v4, 0x80, v2
	v_lshrrev_b32_e32 v4, 5, v4
	v_mad_u32_u24 v5, v4, 34, v3
	ds_read_u16 v5, v5 offset:2
	v_mul_u32_u24_e32 v4, 34, v4
	ds_read_u16 v4, v4
	s_or_b32 s3, s2, 0xc0
	s_waitcnt lgkmcnt(1)
	v_cvt_f16_i16_sdwa v6, sext(v5) dst_sel:DWORD dst_unused:UNUSED_PAD src0_sel:BYTE_1
	v_cvt_f16_i16_sdwa v5, sext(v5) dst_sel:DWORD dst_unused:UNUSED_PAD src0_sel:BYTE_0
	s_waitcnt lgkmcnt(0)
	v_mul_u32_u24_e32 v4, 0x10001, v4
	v_pack_b32_f16 v5, v5, v6
	v_pk_mul_f16 v6, v5, v4
	v_add_co_u32_e32 v4, vcc, s3, v2
	v_addc_co_u32_e64 v5, s[4:5], 0, 0, vcc
	v_cmp_gt_u64_e32 vcc, s[0:1], v[4:5]
	global_store_dword v[0:1], v6, off offset:256
	s_and_b64 exec, exec, vcc
	s_cbranch_execz .LBB1_51
; %bb.22:
	v_add_u32_e32 v4, 0xc0, v2
	v_lshrrev_b32_e32 v4, 5, v4
	v_mad_u32_u24 v5, v4, 34, v3
	ds_read_u16 v5, v5 offset:2
	v_mul_u32_u24_e32 v4, 34, v4
	ds_read_u16 v4, v4
	s_or_b32 s3, s2, 0x100
	s_waitcnt lgkmcnt(1)
	v_cvt_f16_i16_sdwa v6, sext(v5) dst_sel:DWORD dst_unused:UNUSED_PAD src0_sel:BYTE_1
	v_cvt_f16_i16_sdwa v5, sext(v5) dst_sel:DWORD dst_unused:UNUSED_PAD src0_sel:BYTE_0
	s_waitcnt lgkmcnt(0)
	v_mul_u32_u24_e32 v4, 0x10001, v4
	v_pack_b32_f16 v5, v5, v6
	;; [unrolled: 21-line block ×29, first 2 shown]
	v_pk_mul_f16 v6, v5, v4
	v_add_co_u32_e32 v4, vcc, s2, v2
	v_addc_co_u32_e64 v5, s[2:3], 0, 0, vcc
	v_cmp_gt_u64_e32 vcc, s[0:1], v[4:5]
	global_store_dword v[0:1], v6, off offset:3840
	s_and_b64 exec, exec, vcc
	s_cbranch_execz .LBB1_51
; %bb.50:
	v_add_u32_e32 v2, 0x7c0, v2
	v_lshrrev_b32_e32 v2, 5, v2
	v_mad_u32_u24 v3, v2, 34, v3
	ds_read_u16 v3, v3 offset:2
	v_mul_u32_u24_e32 v2, 34, v2
	ds_read_u16 v2, v2
	s_waitcnt lgkmcnt(1)
	v_cvt_f16_i16_sdwa v4, sext(v3) dst_sel:DWORD dst_unused:UNUSED_PAD src0_sel:BYTE_1
	v_cvt_f16_i16_sdwa v3, sext(v3) dst_sel:DWORD dst_unused:UNUSED_PAD src0_sel:BYTE_0
	v_pack_b32_f16 v3, v3, v4
	s_waitcnt lgkmcnt(0)
	v_mul_u32_u24_e32 v2, 0x10001, v2
	v_pk_mul_f16 v2, v3, v2
	global_store_dword v[0:1], v2, off offset:3968
.LBB1_51:
	s_endpgm
	.section	.rodata,"a",@progbits
	.p2align	6, 0x0
	.amdhsa_kernel _ZL25dequantize_block_q8_0_f16ILb1EEvPKvP6__halfl
		.amdhsa_group_segment_fixed_size 2176
		.amdhsa_private_segment_fixed_size 0
		.amdhsa_kernarg_size 24
		.amdhsa_user_sgpr_count 6
		.amdhsa_user_sgpr_private_segment_buffer 1
		.amdhsa_user_sgpr_dispatch_ptr 0
		.amdhsa_user_sgpr_queue_ptr 0
		.amdhsa_user_sgpr_kernarg_segment_ptr 1
		.amdhsa_user_sgpr_dispatch_id 0
		.amdhsa_user_sgpr_flat_scratch_init 0
		.amdhsa_user_sgpr_private_segment_size 0
		.amdhsa_uses_dynamic_stack 0
		.amdhsa_system_sgpr_private_segment_wavefront_offset 0
		.amdhsa_system_sgpr_workgroup_id_x 1
		.amdhsa_system_sgpr_workgroup_id_y 0
		.amdhsa_system_sgpr_workgroup_id_z 0
		.amdhsa_system_sgpr_workgroup_info 0
		.amdhsa_system_vgpr_workitem_id 0
		.amdhsa_next_free_vgpr 29
		.amdhsa_next_free_sgpr 61
		.amdhsa_reserve_vcc 1
		.amdhsa_reserve_flat_scratch 0
		.amdhsa_float_round_mode_32 0
		.amdhsa_float_round_mode_16_64 0
		.amdhsa_float_denorm_mode_32 3
		.amdhsa_float_denorm_mode_16_64 3
		.amdhsa_dx10_clamp 1
		.amdhsa_ieee_mode 1
		.amdhsa_fp16_overflow 0
		.amdhsa_exception_fp_ieee_invalid_op 0
		.amdhsa_exception_fp_denorm_src 0
		.amdhsa_exception_fp_ieee_div_zero 0
		.amdhsa_exception_fp_ieee_overflow 0
		.amdhsa_exception_fp_ieee_underflow 0
		.amdhsa_exception_fp_ieee_inexact 0
		.amdhsa_exception_int_div_zero 0
	.end_amdhsa_kernel
	.section	.text._ZL25dequantize_block_q8_0_f16ILb1EEvPKvP6__halfl,"axG",@progbits,_ZL25dequantize_block_q8_0_f16ILb1EEvPKvP6__halfl,comdat
.Lfunc_end1:
	.size	_ZL25dequantize_block_q8_0_f16ILb1EEvPKvP6__halfl, .Lfunc_end1-_ZL25dequantize_block_q8_0_f16ILb1EEvPKvP6__halfl
                                        ; -- End function
	.set _ZL25dequantize_block_q8_0_f16ILb1EEvPKvP6__halfl.num_vgpr, 7
	.set _ZL25dequantize_block_q8_0_f16ILb1EEvPKvP6__halfl.num_agpr, 0
	.set _ZL25dequantize_block_q8_0_f16ILb1EEvPKvP6__halfl.numbered_sgpr, 16
	.set _ZL25dequantize_block_q8_0_f16ILb1EEvPKvP6__halfl.num_named_barrier, 0
	.set _ZL25dequantize_block_q8_0_f16ILb1EEvPKvP6__halfl.private_seg_size, 0
	.set _ZL25dequantize_block_q8_0_f16ILb1EEvPKvP6__halfl.uses_vcc, 1
	.set _ZL25dequantize_block_q8_0_f16ILb1EEvPKvP6__halfl.uses_flat_scratch, 0
	.set _ZL25dequantize_block_q8_0_f16ILb1EEvPKvP6__halfl.has_dyn_sized_stack, 0
	.set _ZL25dequantize_block_q8_0_f16ILb1EEvPKvP6__halfl.has_recursion, 0
	.set _ZL25dequantize_block_q8_0_f16ILb1EEvPKvP6__halfl.has_indirect_call, 0
	.section	.AMDGPU.csdata,"",@progbits
; Kernel info:
; codeLenInByte = 5220
; TotalNumSgprs: 20
; NumVgprs: 7
; ScratchSize: 0
; MemoryBound: 0
; FloatMode: 240
; IeeeMode: 1
; LDSByteSize: 2176 bytes/workgroup (compile time only)
; SGPRBlocks: 8
; VGPRBlocks: 7
; NumSGPRsForWavesPerEU: 65
; NumVGPRsForWavesPerEU: 29
; Occupancy: 8
; WaveLimiterHint : 0
; COMPUTE_PGM_RSRC2:SCRATCH_EN: 0
; COMPUTE_PGM_RSRC2:USER_SGPR: 6
; COMPUTE_PGM_RSRC2:TRAP_HANDLER: 0
; COMPUTE_PGM_RSRC2:TGID_X_EN: 1
; COMPUTE_PGM_RSRC2:TGID_Y_EN: 0
; COMPUTE_PGM_RSRC2:TGID_Z_EN: 0
; COMPUTE_PGM_RSRC2:TIDIG_COMP_CNT: 0
	.section	.text._ZL21dequantize_block_q4_0I6__halfEvPKvPT_i,"axG",@progbits,_ZL21dequantize_block_q4_0I6__halfEvPKvPT_i,comdat
	.globl	_ZL21dequantize_block_q4_0I6__halfEvPKvPT_i ; -- Begin function _ZL21dequantize_block_q4_0I6__halfEvPKvPT_i
	.p2align	8
	.type	_ZL21dequantize_block_q4_0I6__halfEvPKvPT_i,@function
_ZL21dequantize_block_q4_0I6__halfEvPKvPT_i: ; @_ZL21dequantize_block_q4_0I6__halfEvPKvPT_i
; %bb.0:
	s_load_dword s0, s[4:5], 0x10
	s_mov_b32 s7, 0
	v_and_b32_e32 v3, 7, v0
	s_lshl_b64 s[2:3], s[6:7], 3
	v_mov_b32_e32 v2, s3
	s_waitcnt lgkmcnt(0)
	s_ashr_i32 s1, s0, 31
	v_or_b32_e32 v1, s2, v3
	v_cmp_gt_i64_e32 vcc, s[0:1], v[1:2]
	s_and_saveexec_b64 s[0:1], vcc
	s_cbranch_execz .LBB2_2
; %bb.1:
	s_load_dwordx4 s[0:3], s[4:5], 0x0
	v_lshrrev_b32_e32 v0, 1, v0
	v_and_b32_e32 v6, 0x1fc, v0
	s_waitcnt lgkmcnt(0)
	v_mad_u64_u32 v[4:5], s[0:1], v1, 18, s[0:1]
	s_lshl_b64 s[0:1], s[6:7], 9
	s_add_u32 s0, s2, s0
	v_mad_u32_u24 v5, v2, 18, v5
	v_add_co_u32_e32 v0, vcc, v4, v6
	v_addc_co_u32_e32 v1, vcc, 0, v5, vcc
	global_load_ushort v7, v[4:5], off
	global_load_dword v2, v[0:1], off offset:2
	v_lshlrev_b32_e32 v0, 6, v3
	s_addc_u32 s1, s3, s1
	v_mov_b32_e32 v4, s1
	v_add_co_u32_e32 v0, vcc, s0, v0
	v_lshlrev_b32_e32 v1, 1, v6
	v_addc_co_u32_e32 v4, vcc, 0, v4, vcc
	v_add_co_u32_e32 v0, vcc, v0, v1
	v_addc_co_u32_e32 v1, vcc, 0, v4, vcc
	v_mov_b32_e32 v3, 4
	s_waitcnt vmcnt(1)
	v_cvt_f32_f16_e32 v4, v7
	s_waitcnt vmcnt(0)
	v_lshrrev_b32_e32 v5, 8, v2
	v_and_b32_e32 v6, 15, v2
	v_lshrrev_b16_e32 v8, 4, v2
	v_bfe_u32 v9, v2, 8, 4
	v_bfe_u32 v10, v2, 16, 4
	;; [unrolled: 1-line block ×4, first 2 shown]
	v_lshrrev_b16_sdwa v2, v3, v2 dst_sel:DWORD dst_unused:UNUSED_PAD src0_sel:DWORD src1_sel:BYTE_3
	v_lshrrev_b16_e32 v5, 4, v5
	v_cvt_f32_ubyte0_e32 v3, v6
	v_and_b32_e32 v6, 15, v8
	v_cvt_f32_ubyte0_e32 v8, v9
	v_cvt_f32_ubyte0_e32 v9, v10
	;; [unrolled: 1-line block ×5, first 2 shown]
	v_and_b32_e32 v2, 15, v5
	v_mul_f32_e32 v13, 0xc1000000, v4
	v_cvt_f32_ubyte0_e32 v6, v6
	v_cvt_f32_ubyte0_e32 v14, v2
	v_fma_mixlo_f16 v2, v7, v3, v13 op_sel_hi:[1,0,0]
	v_fma_mixlo_f16 v3, v7, v9, v13 op_sel_hi:[1,0,0]
	;; [unrolled: 1-line block ×4, first 2 shown]
	v_fma_mixhi_f16 v3, v7, v11, v13 op_sel_hi:[1,0,0]
	v_fma_mixhi_f16 v2, v7, v8, v13 op_sel_hi:[1,0,0]
	;; [unrolled: 1-line block ×4, first 2 shown]
	global_store_dwordx2 v[0:1], v[2:3], off
	global_store_dwordx2 v[0:1], v[4:5], off offset:32
.LBB2_2:
	s_endpgm
	.section	.rodata,"a",@progbits
	.p2align	6, 0x0
	.amdhsa_kernel _ZL21dequantize_block_q4_0I6__halfEvPKvPT_i
		.amdhsa_group_segment_fixed_size 0
		.amdhsa_private_segment_fixed_size 0
		.amdhsa_kernarg_size 20
		.amdhsa_user_sgpr_count 6
		.amdhsa_user_sgpr_private_segment_buffer 1
		.amdhsa_user_sgpr_dispatch_ptr 0
		.amdhsa_user_sgpr_queue_ptr 0
		.amdhsa_user_sgpr_kernarg_segment_ptr 1
		.amdhsa_user_sgpr_dispatch_id 0
		.amdhsa_user_sgpr_flat_scratch_init 0
		.amdhsa_user_sgpr_private_segment_size 0
		.amdhsa_uses_dynamic_stack 0
		.amdhsa_system_sgpr_private_segment_wavefront_offset 0
		.amdhsa_system_sgpr_workgroup_id_x 1
		.amdhsa_system_sgpr_workgroup_id_y 0
		.amdhsa_system_sgpr_workgroup_id_z 0
		.amdhsa_system_sgpr_workgroup_info 0
		.amdhsa_system_vgpr_workitem_id 0
		.amdhsa_next_free_vgpr 15
		.amdhsa_next_free_sgpr 8
		.amdhsa_reserve_vcc 1
		.amdhsa_reserve_flat_scratch 0
		.amdhsa_float_round_mode_32 0
		.amdhsa_float_round_mode_16_64 0
		.amdhsa_float_denorm_mode_32 3
		.amdhsa_float_denorm_mode_16_64 3
		.amdhsa_dx10_clamp 1
		.amdhsa_ieee_mode 1
		.amdhsa_fp16_overflow 0
		.amdhsa_exception_fp_ieee_invalid_op 0
		.amdhsa_exception_fp_denorm_src 0
		.amdhsa_exception_fp_ieee_div_zero 0
		.amdhsa_exception_fp_ieee_overflow 0
		.amdhsa_exception_fp_ieee_underflow 0
		.amdhsa_exception_fp_ieee_inexact 0
		.amdhsa_exception_int_div_zero 0
	.end_amdhsa_kernel
	.section	.text._ZL21dequantize_block_q4_0I6__halfEvPKvPT_i,"axG",@progbits,_ZL21dequantize_block_q4_0I6__halfEvPKvPT_i,comdat
.Lfunc_end2:
	.size	_ZL21dequantize_block_q4_0I6__halfEvPKvPT_i, .Lfunc_end2-_ZL21dequantize_block_q4_0I6__halfEvPKvPT_i
                                        ; -- End function
	.set _ZL21dequantize_block_q4_0I6__halfEvPKvPT_i.num_vgpr, 15
	.set _ZL21dequantize_block_q4_0I6__halfEvPKvPT_i.num_agpr, 0
	.set _ZL21dequantize_block_q4_0I6__halfEvPKvPT_i.numbered_sgpr, 8
	.set _ZL21dequantize_block_q4_0I6__halfEvPKvPT_i.num_named_barrier, 0
	.set _ZL21dequantize_block_q4_0I6__halfEvPKvPT_i.private_seg_size, 0
	.set _ZL21dequantize_block_q4_0I6__halfEvPKvPT_i.uses_vcc, 1
	.set _ZL21dequantize_block_q4_0I6__halfEvPKvPT_i.uses_flat_scratch, 0
	.set _ZL21dequantize_block_q4_0I6__halfEvPKvPT_i.has_dyn_sized_stack, 0
	.set _ZL21dequantize_block_q4_0I6__halfEvPKvPT_i.has_recursion, 0
	.set _ZL21dequantize_block_q4_0I6__halfEvPKvPT_i.has_indirect_call, 0
	.section	.AMDGPU.csdata,"",@progbits
; Kernel info:
; codeLenInByte = 356
; TotalNumSgprs: 12
; NumVgprs: 15
; ScratchSize: 0
; MemoryBound: 0
; FloatMode: 240
; IeeeMode: 1
; LDSByteSize: 0 bytes/workgroup (compile time only)
; SGPRBlocks: 1
; VGPRBlocks: 3
; NumSGPRsForWavesPerEU: 12
; NumVGPRsForWavesPerEU: 15
; Occupancy: 10
; WaveLimiterHint : 0
; COMPUTE_PGM_RSRC2:SCRATCH_EN: 0
; COMPUTE_PGM_RSRC2:USER_SGPR: 6
; COMPUTE_PGM_RSRC2:TRAP_HANDLER: 0
; COMPUTE_PGM_RSRC2:TGID_X_EN: 1
; COMPUTE_PGM_RSRC2:TGID_Y_EN: 0
; COMPUTE_PGM_RSRC2:TGID_Z_EN: 0
; COMPUTE_PGM_RSRC2:TIDIG_COMP_CNT: 0
	.section	.text._ZL21dequantize_block_q4_1I6__halfEvPKvPT_i,"axG",@progbits,_ZL21dequantize_block_q4_1I6__halfEvPKvPT_i,comdat
	.globl	_ZL21dequantize_block_q4_1I6__halfEvPKvPT_i ; -- Begin function _ZL21dequantize_block_q4_1I6__halfEvPKvPT_i
	.p2align	8
	.type	_ZL21dequantize_block_q4_1I6__halfEvPKvPT_i,@function
_ZL21dequantize_block_q4_1I6__halfEvPKvPT_i: ; @_ZL21dequantize_block_q4_1I6__halfEvPKvPT_i
; %bb.0:
	s_load_dword s0, s[4:5], 0x10
	s_mov_b32 s7, 0
	v_and_b32_e32 v3, 7, v0
	s_lshl_b64 s[2:3], s[6:7], 3
	v_mov_b32_e32 v2, s3
	s_waitcnt lgkmcnt(0)
	s_ashr_i32 s1, s0, 31
	v_or_b32_e32 v1, s2, v3
	v_cmp_gt_i64_e32 vcc, s[0:1], v[1:2]
	s_and_saveexec_b64 s[0:1], vcc
	s_cbranch_execz .LBB3_2
; %bb.1:
	s_load_dwordx4 s[0:3], s[4:5], 0x0
	v_lshrrev_b32_e32 v0, 1, v0
	v_and_b32_e32 v6, 0x1fc, v0
	s_waitcnt lgkmcnt(0)
	v_mad_u64_u32 v[4:5], s[0:1], v1, 20, s[0:1]
	s_lshl_b64 s[0:1], s[6:7], 9
	s_add_u32 s0, s2, s0
	v_mad_u32_u24 v5, v2, 20, v5
	v_add_co_u32_e32 v0, vcc, v4, v6
	v_addc_co_u32_e32 v1, vcc, 0, v5, vcc
	global_load_dword v2, v[0:1], off offset:4
	global_load_dword v7, v[4:5], off
	v_lshlrev_b32_e32 v0, 6, v3
	s_addc_u32 s1, s3, s1
	v_mov_b32_e32 v4, s1
	v_add_co_u32_e32 v0, vcc, s0, v0
	v_lshlrev_b32_e32 v1, 1, v6
	v_addc_co_u32_e32 v4, vcc, 0, v4, vcc
	v_add_co_u32_e32 v0, vcc, v0, v1
	v_mov_b32_e32 v3, 4
	v_addc_co_u32_e32 v1, vcc, 0, v4, vcc
	s_waitcnt vmcnt(1)
	v_lshrrev_b32_e32 v4, 8, v2
	v_and_b32_e32 v5, 15, v2
	v_lshrrev_b16_e32 v6, 4, v2
	v_bfe_u32 v8, v2, 8, 4
	v_bfe_u32 v9, v2, 16, 4
	;; [unrolled: 1-line block ×4, first 2 shown]
	v_lshrrev_b16_sdwa v2, v3, v2 dst_sel:DWORD dst_unused:UNUSED_PAD src0_sel:DWORD src1_sel:BYTE_3
	v_cvt_f32_ubyte0_e32 v3, v5
	v_and_b32_e32 v5, 15, v6
	v_lshrrev_b16_e32 v4, 4, v4
	v_cvt_f32_ubyte0_e32 v6, v8
	v_cvt_f32_ubyte0_e32 v8, v9
	;; [unrolled: 1-line block ×4, first 2 shown]
	v_and_b32_e32 v13, 15, v4
	v_cvt_f32_ubyte0_e32 v10, v11
	v_cvt_f32_ubyte0_e32 v11, v2
	s_waitcnt vmcnt(0)
	v_fma_mixlo_f16 v2, v7, v3, v7 op_sel:[0,0,1] op_sel_hi:[1,0,1]
	v_fma_mixlo_f16 v3, v7, v8, v7 op_sel:[0,0,1] op_sel_hi:[1,0,1]
	;; [unrolled: 1-line block ×4, first 2 shown]
	v_cvt_f32_ubyte0_e32 v8, v13
	v_fma_mixhi_f16 v3, v7, v10, v7 op_sel:[0,0,1] op_sel_hi:[1,0,1]
	v_fma_mixhi_f16 v2, v7, v6, v7 op_sel:[0,0,1] op_sel_hi:[1,0,1]
	;; [unrolled: 1-line block ×4, first 2 shown]
	global_store_dwordx2 v[0:1], v[2:3], off
	global_store_dwordx2 v[0:1], v[4:5], off offset:32
.LBB3_2:
	s_endpgm
	.section	.rodata,"a",@progbits
	.p2align	6, 0x0
	.amdhsa_kernel _ZL21dequantize_block_q4_1I6__halfEvPKvPT_i
		.amdhsa_group_segment_fixed_size 0
		.amdhsa_private_segment_fixed_size 0
		.amdhsa_kernarg_size 20
		.amdhsa_user_sgpr_count 6
		.amdhsa_user_sgpr_private_segment_buffer 1
		.amdhsa_user_sgpr_dispatch_ptr 0
		.amdhsa_user_sgpr_queue_ptr 0
		.amdhsa_user_sgpr_kernarg_segment_ptr 1
		.amdhsa_user_sgpr_dispatch_id 0
		.amdhsa_user_sgpr_flat_scratch_init 0
		.amdhsa_user_sgpr_private_segment_size 0
		.amdhsa_uses_dynamic_stack 0
		.amdhsa_system_sgpr_private_segment_wavefront_offset 0
		.amdhsa_system_sgpr_workgroup_id_x 1
		.amdhsa_system_sgpr_workgroup_id_y 0
		.amdhsa_system_sgpr_workgroup_id_z 0
		.amdhsa_system_sgpr_workgroup_info 0
		.amdhsa_system_vgpr_workitem_id 0
		.amdhsa_next_free_vgpr 14
		.amdhsa_next_free_sgpr 8
		.amdhsa_reserve_vcc 1
		.amdhsa_reserve_flat_scratch 0
		.amdhsa_float_round_mode_32 0
		.amdhsa_float_round_mode_16_64 0
		.amdhsa_float_denorm_mode_32 3
		.amdhsa_float_denorm_mode_16_64 3
		.amdhsa_dx10_clamp 1
		.amdhsa_ieee_mode 1
		.amdhsa_fp16_overflow 0
		.amdhsa_exception_fp_ieee_invalid_op 0
		.amdhsa_exception_fp_denorm_src 0
		.amdhsa_exception_fp_ieee_div_zero 0
		.amdhsa_exception_fp_ieee_overflow 0
		.amdhsa_exception_fp_ieee_underflow 0
		.amdhsa_exception_fp_ieee_inexact 0
		.amdhsa_exception_int_div_zero 0
	.end_amdhsa_kernel
	.section	.text._ZL21dequantize_block_q4_1I6__halfEvPKvPT_i,"axG",@progbits,_ZL21dequantize_block_q4_1I6__halfEvPKvPT_i,comdat
.Lfunc_end3:
	.size	_ZL21dequantize_block_q4_1I6__halfEvPKvPT_i, .Lfunc_end3-_ZL21dequantize_block_q4_1I6__halfEvPKvPT_i
                                        ; -- End function
	.set _ZL21dequantize_block_q4_1I6__halfEvPKvPT_i.num_vgpr, 14
	.set _ZL21dequantize_block_q4_1I6__halfEvPKvPT_i.num_agpr, 0
	.set _ZL21dequantize_block_q4_1I6__halfEvPKvPT_i.numbered_sgpr, 8
	.set _ZL21dequantize_block_q4_1I6__halfEvPKvPT_i.num_named_barrier, 0
	.set _ZL21dequantize_block_q4_1I6__halfEvPKvPT_i.private_seg_size, 0
	.set _ZL21dequantize_block_q4_1I6__halfEvPKvPT_i.uses_vcc, 1
	.set _ZL21dequantize_block_q4_1I6__halfEvPKvPT_i.uses_flat_scratch, 0
	.set _ZL21dequantize_block_q4_1I6__halfEvPKvPT_i.has_dyn_sized_stack, 0
	.set _ZL21dequantize_block_q4_1I6__halfEvPKvPT_i.has_recursion, 0
	.set _ZL21dequantize_block_q4_1I6__halfEvPKvPT_i.has_indirect_call, 0
	.section	.AMDGPU.csdata,"",@progbits
; Kernel info:
; codeLenInByte = 344
; TotalNumSgprs: 12
; NumVgprs: 14
; ScratchSize: 0
; MemoryBound: 0
; FloatMode: 240
; IeeeMode: 1
; LDSByteSize: 0 bytes/workgroup (compile time only)
; SGPRBlocks: 1
; VGPRBlocks: 3
; NumSGPRsForWavesPerEU: 12
; NumVGPRsForWavesPerEU: 14
; Occupancy: 10
; WaveLimiterHint : 0
; COMPUTE_PGM_RSRC2:SCRATCH_EN: 0
; COMPUTE_PGM_RSRC2:USER_SGPR: 6
; COMPUTE_PGM_RSRC2:TRAP_HANDLER: 0
; COMPUTE_PGM_RSRC2:TGID_X_EN: 1
; COMPUTE_PGM_RSRC2:TGID_Y_EN: 0
; COMPUTE_PGM_RSRC2:TGID_Z_EN: 0
; COMPUTE_PGM_RSRC2:TIDIG_COMP_CNT: 0
	.section	.text._ZL21dequantize_block_q2_KI6__halfEvPKvPT_,"axG",@progbits,_ZL21dequantize_block_q2_KI6__halfEvPKvPT_,comdat
	.globl	_ZL21dequantize_block_q2_KI6__halfEvPKvPT_ ; -- Begin function _ZL21dequantize_block_q2_KI6__halfEvPKvPT_
	.p2align	8
	.type	_ZL21dequantize_block_q2_KI6__halfEvPKvPT_,@function
_ZL21dequantize_block_q2_KI6__halfEvPKvPT_: ; @_ZL21dequantize_block_q2_KI6__halfEvPKvPT_
; %bb.0:
	s_load_dwordx4 s[0:3], s[4:5], 0x0
	s_mul_i32 s5, s6, 0x54
	v_lshrrev_b32_e32 v3, 5, v0
	s_mul_hi_u32 s4, s6, 0x54
	v_lshlrev_b32_e32 v1, 3, v3
	s_waitcnt lgkmcnt(0)
	s_add_u32 s0, s0, s5
	s_addc_u32 s1, s1, s4
	v_mov_b32_e32 v5, s1
	v_add_co_u32_e32 v1, vcc, s0, v1
	v_bfe_u32 v2, v0, 4, 1
	v_addc_co_u32_e32 v5, vcc, 0, v5, vcc
	v_add_co_u32_e32 v1, vcc, v1, v2
	v_addc_co_u32_e32 v2, vcc, 0, v5, vcc
	global_load_ubyte v4, v0, s[0:1] offset:16
	global_load_ubyte v5, v[1:2], off
	global_load_ubyte v6, v[1:2], off offset:2
	global_load_ubyte v7, v[1:2], off offset:4
	;; [unrolled: 1-line block ×3, first 2 shown]
	s_mov_b32 s7, 0
	s_load_dword s4, s[0:1], 0x50
	s_lshl_b64 s[0:1], s[6:7], 9
	s_add_u32 s0, s2, s0
	v_lshlrev_b32_e32 v1, 8, v3
	s_addc_u32 s1, s3, s1
	v_and_b32_e32 v0, 31, v0
	v_mov_b32_e32 v2, s1
	v_add_co_u32_e32 v1, vcc, s0, v1
	v_lshlrev_b32_e32 v0, 1, v0
	v_addc_co_u32_e32 v2, vcc, 0, v2, vcc
	v_add_co_u32_e32 v0, vcc, v1, v0
	s_waitcnt lgkmcnt(0)
	s_lshr_b32 s0, s4, 16
	v_addc_co_u32_e32 v1, vcc, 0, v2, vcc
	v_cvt_f32_f16_e32 v2, s4
	v_cvt_f32_f16_e32 v3, s0
	s_waitcnt vmcnt(3)
	v_and_b32_e32 v12, 15, v5
	v_lshrrev_b32_e32 v5, 4, v5
	v_and_b32_e32 v9, 3, v4
	s_waitcnt vmcnt(2)
	v_and_b32_e32 v13, 15, v6
	v_lshrrev_b32_e32 v6, 4, v6
	s_waitcnt vmcnt(1)
	v_and_b32_e32 v14, 15, v7
	v_lshrrev_b32_e32 v7, 4, v7
	;; [unrolled: 3-line block ×3, first 2 shown]
	v_cvt_f32_ubyte0_e32 v12, v12
	v_cvt_f32_ubyte0_e32 v5, v5
	v_bfe_u32 v10, v4, 2, 2
	v_bfe_u32 v11, v4, 4, 2
	v_lshrrev_b32_e32 v4, 6, v4
	v_cvt_f32_ubyte0_e32 v9, v9
	v_cvt_f32_ubyte0_e32 v13, v13
	;; [unrolled: 1-line block ×7, first 2 shown]
	v_mul_f32_e32 v12, v2, v12
	v_mul_f32_e32 v5, v3, v5
	v_cvt_f32_ubyte0_e32 v10, v10
	v_cvt_f32_ubyte0_e32 v11, v11
	;; [unrolled: 1-line block ×3, first 2 shown]
	v_mul_f32_e32 v13, v2, v13
	v_mul_f32_e32 v6, v3, v6
	;; [unrolled: 1-line block ×6, first 2 shown]
	v_fma_mixlo_f16 v5, v12, v9, -v5
	v_fma_mixlo_f16 v6, v13, v10, -v6
	;; [unrolled: 1-line block ×4, first 2 shown]
	global_store_short v[0:1], v5, off
	global_store_short v[0:1], v6, off offset:64
	global_store_short v[0:1], v7, off offset:128
	;; [unrolled: 1-line block ×3, first 2 shown]
	s_endpgm
	.section	.rodata,"a",@progbits
	.p2align	6, 0x0
	.amdhsa_kernel _ZL21dequantize_block_q2_KI6__halfEvPKvPT_
		.amdhsa_group_segment_fixed_size 0
		.amdhsa_private_segment_fixed_size 0
		.amdhsa_kernarg_size 16
		.amdhsa_user_sgpr_count 6
		.amdhsa_user_sgpr_private_segment_buffer 1
		.amdhsa_user_sgpr_dispatch_ptr 0
		.amdhsa_user_sgpr_queue_ptr 0
		.amdhsa_user_sgpr_kernarg_segment_ptr 1
		.amdhsa_user_sgpr_dispatch_id 0
		.amdhsa_user_sgpr_flat_scratch_init 0
		.amdhsa_user_sgpr_private_segment_size 0
		.amdhsa_uses_dynamic_stack 0
		.amdhsa_system_sgpr_private_segment_wavefront_offset 0
		.amdhsa_system_sgpr_workgroup_id_x 1
		.amdhsa_system_sgpr_workgroup_id_y 0
		.amdhsa_system_sgpr_workgroup_id_z 0
		.amdhsa_system_sgpr_workgroup_info 0
		.amdhsa_system_vgpr_workitem_id 0
		.amdhsa_next_free_vgpr 16
		.amdhsa_next_free_sgpr 8
		.amdhsa_reserve_vcc 1
		.amdhsa_reserve_flat_scratch 0
		.amdhsa_float_round_mode_32 0
		.amdhsa_float_round_mode_16_64 0
		.amdhsa_float_denorm_mode_32 3
		.amdhsa_float_denorm_mode_16_64 3
		.amdhsa_dx10_clamp 1
		.amdhsa_ieee_mode 1
		.amdhsa_fp16_overflow 0
		.amdhsa_exception_fp_ieee_invalid_op 0
		.amdhsa_exception_fp_denorm_src 0
		.amdhsa_exception_fp_ieee_div_zero 0
		.amdhsa_exception_fp_ieee_overflow 0
		.amdhsa_exception_fp_ieee_underflow 0
		.amdhsa_exception_fp_ieee_inexact 0
		.amdhsa_exception_int_div_zero 0
	.end_amdhsa_kernel
	.section	.text._ZL21dequantize_block_q2_KI6__halfEvPKvPT_,"axG",@progbits,_ZL21dequantize_block_q2_KI6__halfEvPKvPT_,comdat
.Lfunc_end4:
	.size	_ZL21dequantize_block_q2_KI6__halfEvPKvPT_, .Lfunc_end4-_ZL21dequantize_block_q2_KI6__halfEvPKvPT_
                                        ; -- End function
	.set _ZL21dequantize_block_q2_KI6__halfEvPKvPT_.num_vgpr, 16
	.set _ZL21dequantize_block_q2_KI6__halfEvPKvPT_.num_agpr, 0
	.set _ZL21dequantize_block_q2_KI6__halfEvPKvPT_.numbered_sgpr, 8
	.set _ZL21dequantize_block_q2_KI6__halfEvPKvPT_.num_named_barrier, 0
	.set _ZL21dequantize_block_q2_KI6__halfEvPKvPT_.private_seg_size, 0
	.set _ZL21dequantize_block_q2_KI6__halfEvPKvPT_.uses_vcc, 1
	.set _ZL21dequantize_block_q2_KI6__halfEvPKvPT_.uses_flat_scratch, 0
	.set _ZL21dequantize_block_q2_KI6__halfEvPKvPT_.has_dyn_sized_stack, 0
	.set _ZL21dequantize_block_q2_KI6__halfEvPKvPT_.has_recursion, 0
	.set _ZL21dequantize_block_q2_KI6__halfEvPKvPT_.has_indirect_call, 0
	.section	.AMDGPU.csdata,"",@progbits
; Kernel info:
; codeLenInByte = 404
; TotalNumSgprs: 12
; NumVgprs: 16
; ScratchSize: 0
; MemoryBound: 0
; FloatMode: 240
; IeeeMode: 1
; LDSByteSize: 0 bytes/workgroup (compile time only)
; SGPRBlocks: 1
; VGPRBlocks: 3
; NumSGPRsForWavesPerEU: 12
; NumVGPRsForWavesPerEU: 16
; Occupancy: 10
; WaveLimiterHint : 0
; COMPUTE_PGM_RSRC2:SCRATCH_EN: 0
; COMPUTE_PGM_RSRC2:USER_SGPR: 6
; COMPUTE_PGM_RSRC2:TRAP_HANDLER: 0
; COMPUTE_PGM_RSRC2:TGID_X_EN: 1
; COMPUTE_PGM_RSRC2:TGID_Y_EN: 0
; COMPUTE_PGM_RSRC2:TGID_Z_EN: 0
; COMPUTE_PGM_RSRC2:TIDIG_COMP_CNT: 0
	.section	.text._ZL21dequantize_block_q3_KI6__halfEvPKvPT_,"axG",@progbits,_ZL21dequantize_block_q3_KI6__halfEvPKvPT_,comdat
	.globl	_ZL21dequantize_block_q3_KI6__halfEvPKvPT_ ; -- Begin function _ZL21dequantize_block_q3_KI6__halfEvPKvPT_
	.p2align	8
	.type	_ZL21dequantize_block_q3_KI6__halfEvPKvPT_,@function
_ZL21dequantize_block_q3_KI6__halfEvPKvPT_: ; @_ZL21dequantize_block_q3_KI6__halfEvPKvPT_
; %bb.0:
	v_lshrrev_b32_e32 v10, 5, v0
	v_lshrrev_b32_e32 v9, 3, v0
	v_lshlrev_b32_e32 v2, 2, v10
	v_sub_co_u32_e32 v3, vcc, v9, v2
	s_load_dwordx4 s[0:3], s[4:5], 0x0
	v_lshrrev_b32_e32 v1, 2, v0
	v_subb_co_u32_e64 v4, s[4:5], 0, 0, vcc
	v_and_b32_e32 v5, 0xf8, v1
	v_lshlrev_b64 v[1:2], 1, v[3:4]
	v_bfe_u32 v11, v0, 2, 1
	v_add_co_u32_e32 v7, vcc, v1, v5
	v_addc_co_u32_e32 v8, vcc, 0, v2, vcc
	v_or_b32_e32 v5, v7, v11
	v_mov_b32_e32 v6, v8
	v_cmp_lt_i64_e32 vcc, 3, v[5:6]
	s_mov_b32 s7, 0
	s_mul_hi_u32 s12, s6, 0x6e
	s_mul_i32 s13, s6, 0x6e
                                        ; implicit-def: $vgpr12
                                        ; implicit-def: $vgpr2
	s_and_saveexec_b64 s[4:5], vcc
	s_xor_b64 s[4:5], exec, s[4:5]
	s_cbranch_execz .LBB5_10
; %bb.1:
	v_cmp_lt_u64_e32 vcc, 7, v[7:8]
                                        ; implicit-def: $vgpr12
                                        ; implicit-def: $vgpr2
	s_and_saveexec_b64 s[8:9], vcc
	s_xor_b64 s[8:9], exec, s[8:9]
	s_cbranch_execz .LBB5_7
; %bb.2:
	s_waitcnt lgkmcnt(0)
	s_add_u32 s10, s0, s13
	s_addc_u32 s11, s1, s12
	v_mov_b32_e32 v2, s11
	v_add_co_u32_e32 v5, vcc, s10, v5
	v_addc_co_u32_e32 v6, vcc, v2, v6, vcc
	global_load_ubyte v12, v[5:6], off offset:88
	v_cmp_lt_u64_e32 vcc, 11, v[7:8]
                                        ; implicit-def: $vgpr2
	s_and_saveexec_b64 s[10:11], vcc
	s_xor_b64 s[10:11], exec, s[10:11]
	s_cbranch_execz .LBB5_4
; %bb.3:
	global_load_ubyte v2, v[5:6], off offset:92
                                        ; implicit-def: $vgpr5_vgpr6
	s_waitcnt vmcnt(0)
	v_lshrrev_b16_e32 v2, 2, v2
.LBB5_4:
	s_andn2_saveexec_b64 s[10:11], s[10:11]
	s_cbranch_execz .LBB5_6
; %bb.5:
	global_load_ubyte v2, v[5:6], off offset:96
.LBB5_6:
	s_or_b64 exec, exec, s[10:11]
	s_waitcnt vmcnt(0)
	v_lshrrev_b16_e32 v12, 4, v12
                                        ; implicit-def: $vgpr5_vgpr6
.LBB5_7:
	s_andn2_saveexec_b64 s[8:9], s[8:9]
	s_cbranch_execz .LBB5_9
; %bb.8:
	s_waitcnt lgkmcnt(0)
	s_add_u32 s10, s0, s13
	s_addc_u32 s11, s1, s12
	v_mov_b32_e32 v2, s11
	v_add_co_u32_e32 v5, vcc, s10, v5
	v_addc_co_u32_e32 v6, vcc, v2, v6, vcc
	global_load_ubyte v2, v[5:6], off offset:96
	global_load_ubyte v7, v[5:6], off offset:100
	s_waitcnt vmcnt(1)
	v_and_b32_e32 v12, 15, v2
	s_waitcnt vmcnt(0)
	v_lshlrev_b16_e32 v2, 2, v7
.LBB5_9:
	s_or_b64 exec, exec, s[8:9]
                                        ; implicit-def: $vgpr5_vgpr6
.LBB5_10:
	s_andn2_saveexec_b64 s[4:5], s[4:5]
	s_cbranch_execz .LBB5_12
; %bb.11:
	s_waitcnt lgkmcnt(0)
	s_add_u32 s8, s0, s13
	s_addc_u32 s9, s1, s12
	v_mov_b32_e32 v2, s9
	v_add_co_u32_e32 v5, vcc, s8, v5
	v_addc_co_u32_e32 v6, vcc, v2, v6, vcc
	global_load_ubyte v2, v[5:6], off offset:96
	global_load_ubyte v7, v[5:6], off offset:104
	s_waitcnt vmcnt(1)
	v_and_b32_e32 v12, 15, v2
	s_waitcnt vmcnt(0)
	v_lshlrev_b16_e32 v2, 4, v7
.LBB5_12:
	s_or_b64 exec, exec, s[4:5]
	s_waitcnt lgkmcnt(0)
	s_add_u32 s0, s0, s13
	v_lshlrev_b32_e32 v0, 2, v0
	s_addc_u32 s1, s1, s12
	v_lshlrev_b32_e32 v5, 5, v10
	v_and_b32_e32 v0, 12, v0
	v_mov_b32_e32 v6, s1
	v_add_co_u32_e32 v5, vcc, s0, v5
	v_lshl_or_b32 v7, v11, 4, v0
	v_addc_co_u32_e32 v6, vcc, 0, v6, vcc
	v_mov_b32_e32 v0, 0
	v_add_co_u32_e32 v5, vcc, v5, v7
	v_addc_co_u32_e32 v6, vcc, 0, v6, vcc
	global_load_ushort v11, v0, s[0:1] offset:108
	global_load_ubyte v13, v[5:6], off offset:32
	global_load_ubyte v14, v7, s[0:1]
	s_lshl_b64 s[4:5], s[6:7], 9
	s_add_u32 s2, s2, s4
	v_lshlrev_b32_e32 v10, 8, v10
	s_addc_u32 s3, s3, s5
	v_lshlrev_b32_e64 v8, v9, 1
	v_and_b32_e32 v9, 48, v2
	v_lshlrev_b64 v[2:3], 6, v[3:4]
	v_mov_b32_e32 v16, s3
	v_add_co_u32_e32 v10, vcc, s2, v10
	v_addc_co_u32_e32 v16, vcc, 0, v16, vcc
	v_add_co_u32_e32 v2, vcc, v10, v2
	v_addc_co_u32_e32 v3, vcc, v16, v3, vcc
	v_mov_b32_e32 v15, 32
	v_or_b32_e32 v4, v9, v12
	v_sub_u32_sdwa v4, v4, v15 dst_sel:DWORD dst_unused:UNUSED_PAD src0_sel:BYTE_0 src1_sel:DWORD
	v_cvt_f32_i32_e32 v4, v4
	v_lshlrev_b32_e32 v12, 1, v7
	v_add_u32_e32 v9, 4, v7
	v_or_b32_e32 v15, 1, v7
	s_waitcnt vmcnt(2)
	v_cvt_f32_f16_e32 v10, v11
	s_waitcnt vmcnt(1)
	v_lshrrev_b32_e32 v11, v1, v13
	s_waitcnt vmcnt(0)
	v_and_b32_e32 v13, v8, v14
	v_cmp_eq_u32_e32 vcc, 0, v13
	v_cndmask_b32_e64 v13, 0, -4, vcc
	v_and_or_b32 v11, v11, 3, v13
	v_cvt_f32_i32_e32 v11, v11
	v_add_co_u32_e32 v2, vcc, v2, v12
	v_addc_co_u32_e32 v3, vcc, 0, v3, vcc
	v_mul_f32_e32 v4, v10, v4
	v_fma_mixlo_f16 v10, v4, v11, 0
	v_cmp_gt_u32_e32 vcc, v9, v15
	global_store_short v[2:3], v10, off
	s_and_saveexec_b64 s[2:3], vcc
	s_cbranch_execz .LBB5_14
; %bb.13:
	v_mov_b32_e32 v10, s1
	v_add_co_u32_e32 v9, vcc, s0, v7
	v_addc_co_u32_e32 v10, vcc, 0, v10, vcc
	global_load_ubyte v11, v[5:6], off offset:33
	global_load_ushort v12, v[5:6], off offset:34
	global_load_ushort v13, v[9:10], off offset:2
	global_load_ubyte v14, v7, s[0:1] offset:1
	s_waitcnt vmcnt(3)
	v_lshrrev_b32_e32 v5, v1, v11
	s_waitcnt vmcnt(2)
	v_lshrrev_b32_sdwa v6, v1, v12 dst_sel:DWORD dst_unused:UNUSED_PAD src0_sel:DWORD src1_sel:BYTE_0
	s_waitcnt vmcnt(1)
	v_and_b32_e32 v9, v13, v8
	s_waitcnt vmcnt(0)
	v_and_b32_e32 v7, v8, v14
	v_and_b32_sdwa v8, v8, v13 dst_sel:DWORD dst_unused:UNUSED_PAD src0_sel:DWORD src1_sel:BYTE_1
	v_cmp_eq_u32_e32 vcc, 0, v7
	v_cmp_eq_u32_sdwa s[0:1], v9, v0 src0_sel:BYTE_0 src1_sel:DWORD
	v_cndmask_b32_e64 v7, 0, -4, vcc
	v_cndmask_b32_e64 v0, 0, -4, s[0:1]
	v_cmp_eq_u32_e32 vcc, 0, v8
	v_lshrrev_b32_sdwa v1, v1, v12 dst_sel:DWORD dst_unused:UNUSED_PAD src0_sel:DWORD src1_sel:BYTE_1
	v_cndmask_b32_e64 v8, 0, -4, vcc
	v_and_or_b32 v0, v6, 3, v0
	v_and_or_b32 v5, v5, 3, v7
	v_cvt_f32_i32_e32 v0, v0
	v_and_or_b32 v1, v1, 3, v8
	v_cvt_f32_i32_e32 v5, v5
	v_cvt_f32_i32_e32 v1, v1
	v_fma_mixlo_f16 v0, v4, v0, 0
	v_fma_mixlo_f16 v5, v4, v5, 0
	v_fma_mixhi_f16 v0, v4, v1, 0
	global_store_short v[2:3], v5, off offset:2
	global_store_dword v[2:3], v0, off offset:4
.LBB5_14:
	s_endpgm
	.section	.rodata,"a",@progbits
	.p2align	6, 0x0
	.amdhsa_kernel _ZL21dequantize_block_q3_KI6__halfEvPKvPT_
		.amdhsa_group_segment_fixed_size 0
		.amdhsa_private_segment_fixed_size 0
		.amdhsa_kernarg_size 16
		.amdhsa_user_sgpr_count 6
		.amdhsa_user_sgpr_private_segment_buffer 1
		.amdhsa_user_sgpr_dispatch_ptr 0
		.amdhsa_user_sgpr_queue_ptr 0
		.amdhsa_user_sgpr_kernarg_segment_ptr 1
		.amdhsa_user_sgpr_dispatch_id 0
		.amdhsa_user_sgpr_flat_scratch_init 0
		.amdhsa_user_sgpr_private_segment_size 0
		.amdhsa_uses_dynamic_stack 0
		.amdhsa_system_sgpr_private_segment_wavefront_offset 0
		.amdhsa_system_sgpr_workgroup_id_x 1
		.amdhsa_system_sgpr_workgroup_id_y 0
		.amdhsa_system_sgpr_workgroup_id_z 0
		.amdhsa_system_sgpr_workgroup_info 0
		.amdhsa_system_vgpr_workitem_id 0
		.amdhsa_next_free_vgpr 17
		.amdhsa_next_free_sgpr 14
		.amdhsa_reserve_vcc 1
		.amdhsa_reserve_flat_scratch 0
		.amdhsa_float_round_mode_32 0
		.amdhsa_float_round_mode_16_64 0
		.amdhsa_float_denorm_mode_32 3
		.amdhsa_float_denorm_mode_16_64 3
		.amdhsa_dx10_clamp 1
		.amdhsa_ieee_mode 1
		.amdhsa_fp16_overflow 0
		.amdhsa_exception_fp_ieee_invalid_op 0
		.amdhsa_exception_fp_denorm_src 0
		.amdhsa_exception_fp_ieee_div_zero 0
		.amdhsa_exception_fp_ieee_overflow 0
		.amdhsa_exception_fp_ieee_underflow 0
		.amdhsa_exception_fp_ieee_inexact 0
		.amdhsa_exception_int_div_zero 0
	.end_amdhsa_kernel
	.section	.text._ZL21dequantize_block_q3_KI6__halfEvPKvPT_,"axG",@progbits,_ZL21dequantize_block_q3_KI6__halfEvPKvPT_,comdat
.Lfunc_end5:
	.size	_ZL21dequantize_block_q3_KI6__halfEvPKvPT_, .Lfunc_end5-_ZL21dequantize_block_q3_KI6__halfEvPKvPT_
                                        ; -- End function
	.set _ZL21dequantize_block_q3_KI6__halfEvPKvPT_.num_vgpr, 17
	.set _ZL21dequantize_block_q3_KI6__halfEvPKvPT_.num_agpr, 0
	.set _ZL21dequantize_block_q3_KI6__halfEvPKvPT_.numbered_sgpr, 14
	.set _ZL21dequantize_block_q3_KI6__halfEvPKvPT_.num_named_barrier, 0
	.set _ZL21dequantize_block_q3_KI6__halfEvPKvPT_.private_seg_size, 0
	.set _ZL21dequantize_block_q3_KI6__halfEvPKvPT_.uses_vcc, 1
	.set _ZL21dequantize_block_q3_KI6__halfEvPKvPT_.uses_flat_scratch, 0
	.set _ZL21dequantize_block_q3_KI6__halfEvPKvPT_.has_dyn_sized_stack, 0
	.set _ZL21dequantize_block_q3_KI6__halfEvPKvPT_.has_recursion, 0
	.set _ZL21dequantize_block_q3_KI6__halfEvPKvPT_.has_indirect_call, 0
	.section	.AMDGPU.csdata,"",@progbits
; Kernel info:
; codeLenInByte = 828
; TotalNumSgprs: 18
; NumVgprs: 17
; ScratchSize: 0
; MemoryBound: 0
; FloatMode: 240
; IeeeMode: 1
; LDSByteSize: 0 bytes/workgroup (compile time only)
; SGPRBlocks: 2
; VGPRBlocks: 4
; NumSGPRsForWavesPerEU: 18
; NumVGPRsForWavesPerEU: 17
; Occupancy: 10
; WaveLimiterHint : 0
; COMPUTE_PGM_RSRC2:SCRATCH_EN: 0
; COMPUTE_PGM_RSRC2:USER_SGPR: 6
; COMPUTE_PGM_RSRC2:TRAP_HANDLER: 0
; COMPUTE_PGM_RSRC2:TGID_X_EN: 1
; COMPUTE_PGM_RSRC2:TGID_Y_EN: 0
; COMPUTE_PGM_RSRC2:TGID_Z_EN: 0
; COMPUTE_PGM_RSRC2:TIDIG_COMP_CNT: 0
	.section	.text._ZL21dequantize_block_q4_KI6__halfEvPKvPT_,"axG",@progbits,_ZL21dequantize_block_q4_KI6__halfEvPKvPT_,comdat
	.globl	_ZL21dequantize_block_q4_KI6__halfEvPKvPT_ ; -- Begin function _ZL21dequantize_block_q4_KI6__halfEvPKvPT_
	.p2align	8
	.type	_ZL21dequantize_block_q4_KI6__halfEvPKvPT_,@function
_ZL21dequantize_block_q4_KI6__halfEvPKvPT_: ; @_ZL21dequantize_block_q4_KI6__halfEvPKvPT_
; %bb.0:
	s_load_dwordx2 s[0:1], s[4:5], 0x0
	s_mul_i32 s2, s6, 0x90
	v_lshrrev_b32_e32 v3, 3, v0
	s_mul_hi_u32 s3, s6, 0x90
	v_lshlrev_b32_e32 v1, 1, v3
	s_waitcnt lgkmcnt(0)
	s_add_u32 s2, s0, s2
	s_addc_u32 s3, s1, s3
	v_mov_b32_e32 v2, s3
	v_add_co_u32_e64 v1, s[0:1], s2, v1
	v_cmp_lt_u32_e32 vcc, 15, v0
	v_addc_co_u32_e64 v2, s[0:1], 0, v2, s[0:1]
                                        ; implicit-def: $vgpr5
                                        ; implicit-def: $vgpr4
	s_and_saveexec_b64 s[0:1], vcc
	s_xor_b64 s[0:1], exec, s[0:1]
	s_cbranch_execz .LBB6_2
; %bb.1:
	global_load_ubyte v4, v[1:2], off offset:8
	global_load_ubyte v5, v[1:2], off
	global_load_ubyte v6, v[1:2], off offset:4
	s_waitcnt vmcnt(2)
	v_and_b32_e32 v7, 15, v4
	s_waitcnt vmcnt(1)
	v_lshrrev_b16_e32 v5, 2, v5
	v_lshrrev_b16_e32 v8, 4, v4
	s_waitcnt vmcnt(0)
	v_lshrrev_b16_e32 v4, 2, v6
	v_and_b32_e32 v5, 48, v5
	v_and_b32_e32 v6, 48, v4
	v_or_b32_e32 v4, v5, v7
	v_or_b32_e32 v5, v6, v8
.LBB6_2:
	s_andn2_saveexec_b64 s[0:1], s[0:1]
	s_cbranch_execz .LBB6_4
; %bb.3:
	global_load_ubyte v4, v[1:2], off offset:4
	global_load_ubyte v5, v[1:2], off offset:8
	s_waitcnt vmcnt(1)
	v_and_b32_e32 v4, 63, v4
	s_waitcnt vmcnt(0)
	v_and_b32_e32 v5, 63, v5
.LBB6_4:
	s_or_b64 exec, exec, s[0:1]
	s_load_dwordx2 s[0:1], s[4:5], 0x8
	s_load_dword s8, s[2:3], 0x0
	s_mov_b32 s7, 0
                                        ; implicit-def: $vgpr7
                                        ; implicit-def: $vgpr6
	s_and_saveexec_b64 s[2:3], vcc
	s_xor_b64 s[2:3], exec, s[2:3]
	s_cbranch_execz .LBB6_6
; %bb.5:
	global_load_ubyte v6, v[1:2], off offset:9
	global_load_ubyte v7, v[1:2], off offset:1
	;; [unrolled: 1-line block ×3, first 2 shown]
	s_waitcnt vmcnt(2)
	v_and_b32_e32 v9, 15, v6
	s_waitcnt vmcnt(1)
	v_lshrrev_b16_e32 v7, 2, v7
	v_lshrrev_b16_e32 v10, 4, v6
	s_waitcnt vmcnt(0)
	v_lshrrev_b16_e32 v6, 2, v8
	v_and_b32_e32 v7, 48, v7
	v_and_b32_e32 v8, 48, v6
	v_or_b32_e32 v6, v7, v9
	v_or_b32_e32 v7, v8, v10
.LBB6_6:
	s_andn2_saveexec_b64 s[2:3], s[2:3]
	s_cbranch_execz .LBB6_8
; %bb.7:
	global_load_ubyte v6, v[1:2], off offset:5
	global_load_ubyte v7, v[1:2], off offset:9
	s_waitcnt vmcnt(1)
	v_and_b32_e32 v6, 63, v6
	s_waitcnt vmcnt(0)
	v_and_b32_e32 v7, 63, v7
.LBB6_8:
	s_or_b64 exec, exec, s[2:3]
	v_mad_u64_u32 v[1:2], s[2:3], v3, 30, v[1:2]
	v_lshlrev_b32_e32 v0, 2, v0
	v_and_b32_e32 v8, 28, v0
	v_add_co_u32_e32 v0, vcc, v1, v8
	v_addc_co_u32_e32 v1, vcc, 0, v2, vcc
	global_load_dword v2, v[0:1], off offset:16
	s_waitcnt lgkmcnt(0)
	s_lshr_b32 s4, s8, 16
	v_cvt_f32_f16_e32 v1, s8
	s_lshl_b64 s[2:3], s[6:7], 9
	v_cvt_f32_f16_e32 v9, s4
	s_add_u32 s0, s0, s2
	v_lshlrev_b32_e32 v3, 7, v3
	s_addc_u32 s1, s1, s3
	v_cvt_f32_ubyte0_e32 v4, v4
	v_mov_b32_e32 v10, s1
	v_add_co_u32_e32 v3, vcc, s0, v3
	v_cvt_f32_ubyte0_e32 v0, v5
	v_lshlrev_b32_e32 v8, 1, v8
	v_mul_f32_e32 v11, v1, v4
	v_addc_co_u32_e32 v4, vcc, 0, v10, vcc
	v_cvt_f32_ubyte0_e32 v5, v6
	v_mul_f32_e32 v12, v9, v0
	v_add_co_u32_e32 v0, vcc, v3, v8
	v_cvt_f32_ubyte0_e32 v6, v7
	v_mov_b32_e32 v7, 4
	v_mul_f32_e32 v10, v1, v5
	v_addc_co_u32_e32 v1, vcc, 0, v4, vcc
	v_mul_f32_e32 v6, v9, v6
	s_waitcnt vmcnt(0)
	v_lshrrev_b32_e32 v3, 8, v2
	v_and_b32_e32 v4, 15, v2
	v_lshrrev_b16_e32 v5, 4, v2
	v_bfe_u32 v8, v2, 8, 4
	v_bfe_u32 v9, v2, 16, 4
	;; [unrolled: 1-line block ×4, first 2 shown]
	v_lshrrev_b16_sdwa v2, v7, v2 dst_sel:DWORD dst_unused:UNUSED_PAD src0_sel:DWORD src1_sel:BYTE_3
	v_cvt_f32_ubyte0_e32 v4, v4
	v_and_b32_e32 v5, 15, v5
	v_lshrrev_b16_e32 v3, 4, v3
	v_cvt_f32_ubyte0_e32 v7, v8
	v_cvt_f32_ubyte0_e32 v8, v9
	;; [unrolled: 1-line block ×5, first 2 shown]
	v_fma_mixlo_f16 v2, v11, v4, -v12
	v_cvt_f32_ubyte0_e32 v4, v5
	v_and_b32_e32 v15, 15, v3
	v_fma_mixlo_f16 v3, v11, v8, -v12
	v_fma_mixlo_f16 v5, v10, v9, -v6
	;; [unrolled: 1-line block ×3, first 2 shown]
	v_cvt_f32_ubyte0_e32 v8, v15
	v_fma_mixhi_f16 v3, v11, v13, -v12
	v_fma_mixhi_f16 v2, v11, v7, -v12
	;; [unrolled: 1-line block ×4, first 2 shown]
	global_store_dwordx2 v[0:1], v[2:3], off
	global_store_dwordx2 v[0:1], v[4:5], off offset:64
	s_endpgm
	.section	.rodata,"a",@progbits
	.p2align	6, 0x0
	.amdhsa_kernel _ZL21dequantize_block_q4_KI6__halfEvPKvPT_
		.amdhsa_group_segment_fixed_size 0
		.amdhsa_private_segment_fixed_size 0
		.amdhsa_kernarg_size 16
		.amdhsa_user_sgpr_count 6
		.amdhsa_user_sgpr_private_segment_buffer 1
		.amdhsa_user_sgpr_dispatch_ptr 0
		.amdhsa_user_sgpr_queue_ptr 0
		.amdhsa_user_sgpr_kernarg_segment_ptr 1
		.amdhsa_user_sgpr_dispatch_id 0
		.amdhsa_user_sgpr_flat_scratch_init 0
		.amdhsa_user_sgpr_private_segment_size 0
		.amdhsa_uses_dynamic_stack 0
		.amdhsa_system_sgpr_private_segment_wavefront_offset 0
		.amdhsa_system_sgpr_workgroup_id_x 1
		.amdhsa_system_sgpr_workgroup_id_y 0
		.amdhsa_system_sgpr_workgroup_id_z 0
		.amdhsa_system_sgpr_workgroup_info 0
		.amdhsa_system_vgpr_workitem_id 0
		.amdhsa_next_free_vgpr 16
		.amdhsa_next_free_sgpr 9
		.amdhsa_reserve_vcc 1
		.amdhsa_reserve_flat_scratch 0
		.amdhsa_float_round_mode_32 0
		.amdhsa_float_round_mode_16_64 0
		.amdhsa_float_denorm_mode_32 3
		.amdhsa_float_denorm_mode_16_64 3
		.amdhsa_dx10_clamp 1
		.amdhsa_ieee_mode 1
		.amdhsa_fp16_overflow 0
		.amdhsa_exception_fp_ieee_invalid_op 0
		.amdhsa_exception_fp_denorm_src 0
		.amdhsa_exception_fp_ieee_div_zero 0
		.amdhsa_exception_fp_ieee_overflow 0
		.amdhsa_exception_fp_ieee_underflow 0
		.amdhsa_exception_fp_ieee_inexact 0
		.amdhsa_exception_int_div_zero 0
	.end_amdhsa_kernel
	.section	.text._ZL21dequantize_block_q4_KI6__halfEvPKvPT_,"axG",@progbits,_ZL21dequantize_block_q4_KI6__halfEvPKvPT_,comdat
.Lfunc_end6:
	.size	_ZL21dequantize_block_q4_KI6__halfEvPKvPT_, .Lfunc_end6-_ZL21dequantize_block_q4_KI6__halfEvPKvPT_
                                        ; -- End function
	.set _ZL21dequantize_block_q4_KI6__halfEvPKvPT_.num_vgpr, 16
	.set _ZL21dequantize_block_q4_KI6__halfEvPKvPT_.num_agpr, 0
	.set _ZL21dequantize_block_q4_KI6__halfEvPKvPT_.numbered_sgpr, 9
	.set _ZL21dequantize_block_q4_KI6__halfEvPKvPT_.num_named_barrier, 0
	.set _ZL21dequantize_block_q4_KI6__halfEvPKvPT_.private_seg_size, 0
	.set _ZL21dequantize_block_q4_KI6__halfEvPKvPT_.uses_vcc, 1
	.set _ZL21dequantize_block_q4_KI6__halfEvPKvPT_.uses_flat_scratch, 0
	.set _ZL21dequantize_block_q4_KI6__halfEvPKvPT_.has_dyn_sized_stack, 0
	.set _ZL21dequantize_block_q4_KI6__halfEvPKvPT_.has_recursion, 0
	.set _ZL21dequantize_block_q4_KI6__halfEvPKvPT_.has_indirect_call, 0
	.section	.AMDGPU.csdata,"",@progbits
; Kernel info:
; codeLenInByte = 644
; TotalNumSgprs: 13
; NumVgprs: 16
; ScratchSize: 0
; MemoryBound: 0
; FloatMode: 240
; IeeeMode: 1
; LDSByteSize: 0 bytes/workgroup (compile time only)
; SGPRBlocks: 1
; VGPRBlocks: 3
; NumSGPRsForWavesPerEU: 13
; NumVGPRsForWavesPerEU: 16
; Occupancy: 10
; WaveLimiterHint : 0
; COMPUTE_PGM_RSRC2:SCRATCH_EN: 0
; COMPUTE_PGM_RSRC2:USER_SGPR: 6
; COMPUTE_PGM_RSRC2:TRAP_HANDLER: 0
; COMPUTE_PGM_RSRC2:TGID_X_EN: 1
; COMPUTE_PGM_RSRC2:TGID_Y_EN: 0
; COMPUTE_PGM_RSRC2:TGID_Z_EN: 0
; COMPUTE_PGM_RSRC2:TIDIG_COMP_CNT: 0
	.section	.text._ZL21dequantize_block_q5_KI6__halfEvPKvPT_,"axG",@progbits,_ZL21dequantize_block_q5_KI6__halfEvPKvPT_,comdat
	.globl	_ZL21dequantize_block_q5_KI6__halfEvPKvPT_ ; -- Begin function _ZL21dequantize_block_q5_KI6__halfEvPKvPT_
	.p2align	8
	.type	_ZL21dequantize_block_q5_KI6__halfEvPKvPT_,@function
_ZL21dequantize_block_q5_KI6__halfEvPKvPT_: ; @_ZL21dequantize_block_q5_KI6__halfEvPKvPT_
; %bb.0:
	s_load_dwordx2 s[0:1], s[4:5], 0x0
	s_mul_i32 s2, s6, 0xb0
	v_lshrrev_b32_e32 v4, 4, v0
	s_mul_hi_u32 s3, s6, 0xb0
	v_lshlrev_b32_e32 v3, 1, v4
	s_waitcnt lgkmcnt(0)
	s_add_u32 s2, s0, s2
	s_addc_u32 s3, s1, s3
	v_mov_b32_e32 v2, s3
	v_add_co_u32_e64 v1, s[0:1], s2, v3
	v_cmp_lt_u32_e32 vcc, 31, v0
	v_addc_co_u32_e64 v2, s[0:1], 0, v2, s[0:1]
                                        ; implicit-def: $vgpr6
                                        ; implicit-def: $vgpr5
	s_and_saveexec_b64 s[0:1], vcc
	s_xor_b64 s[0:1], exec, s[0:1]
	s_cbranch_execz .LBB7_2
; %bb.1:
	global_load_ubyte v5, v[1:2], off offset:8
	global_load_ubyte v6, v[1:2], off
	global_load_ubyte v7, v[1:2], off offset:4
	s_waitcnt vmcnt(2)
	v_and_b32_e32 v8, 15, v5
	s_waitcnt vmcnt(1)
	v_lshrrev_b16_e32 v6, 2, v6
	v_lshrrev_b16_e32 v9, 4, v5
	s_waitcnt vmcnt(0)
	v_lshrrev_b16_e32 v5, 2, v7
	v_and_b32_e32 v6, 48, v6
	v_and_b32_e32 v7, 48, v5
	v_or_b32_e32 v5, v6, v8
	v_or_b32_e32 v6, v7, v9
.LBB7_2:
	s_andn2_saveexec_b64 s[0:1], s[0:1]
	s_cbranch_execz .LBB7_4
; %bb.3:
	global_load_ubyte v5, v[1:2], off offset:4
	global_load_ubyte v6, v[1:2], off offset:8
	s_waitcnt vmcnt(1)
	v_and_b32_e32 v5, 63, v5
	s_waitcnt vmcnt(0)
	v_and_b32_e32 v6, 63, v6
.LBB7_4:
	s_or_b64 exec, exec, s[0:1]
	s_load_dwordx2 s[0:1], s[4:5], 0x8
	s_load_dword s8, s[2:3], 0x0
	s_mov_b32 s7, 0
                                        ; implicit-def: $vgpr8
                                        ; implicit-def: $vgpr7
	s_and_saveexec_b64 s[4:5], vcc
	s_xor_b64 s[4:5], exec, s[4:5]
	s_cbranch_execz .LBB7_6
; %bb.5:
	global_load_ubyte v7, v[1:2], off offset:9
	global_load_ubyte v8, v[1:2], off offset:1
	;; [unrolled: 1-line block ×3, first 2 shown]
	s_waitcnt vmcnt(2)
	v_and_b32_e32 v10, 15, v7
	s_waitcnt vmcnt(1)
	v_lshrrev_b16_e32 v8, 2, v8
	v_lshrrev_b16_e32 v11, 4, v7
	s_waitcnt vmcnt(0)
	v_lshrrev_b16_e32 v7, 2, v9
	v_and_b32_e32 v8, 48, v8
	v_and_b32_e32 v9, 48, v7
	v_or_b32_e32 v7, v8, v10
	v_or_b32_e32 v8, v9, v11
.LBB7_6:
	s_andn2_saveexec_b64 s[4:5], s[4:5]
	s_cbranch_execz .LBB7_8
; %bb.7:
	global_load_ubyte v7, v[1:2], off offset:5
	global_load_ubyte v8, v[1:2], off offset:9
	s_waitcnt vmcnt(1)
	v_and_b32_e32 v7, 63, v7
	s_waitcnt vmcnt(0)
	v_and_b32_e32 v8, 63, v8
.LBB7_8:
	s_or_b64 exec, exec, s[4:5]
	v_mad_u64_u32 v[1:2], s[4:5], v4, 30, v[1:2]
	v_lshlrev_b32_e32 v0, 1, v0
	v_and_b32_e32 v9, 30, v0
	v_add_co_u32_e32 v0, vcc, v1, v9
	v_addc_co_u32_e32 v1, vcc, 0, v2, vcc
	global_load_ushort v2, v[0:1], off offset:48
	global_load_ushort v10, v9, s[2:3] offset:16
	s_waitcnt lgkmcnt(0)
	s_lshr_b32 s4, s8, 16
	s_lshl_b64 s[2:3], s[6:7], 9
	v_cvt_f32_f16_e32 v12, s4
	s_add_u32 s0, s0, s2
	v_cvt_f32_f16_e32 v1, s8
	v_lshlrev_b32_e32 v4, 7, v4
	s_addc_u32 s1, s1, s3
	v_mov_b32_e32 v13, s1
	v_add_co_u32_e32 v4, vcc, s0, v4
	v_cvt_f32_ubyte0_e32 v0, v6
	v_lshlrev_b32_e32 v9, 1, v9
	v_addc_co_u32_e32 v13, vcc, 0, v13, vcc
	v_cvt_f32_ubyte0_e32 v5, v5
	v_cvt_f32_ubyte0_e32 v6, v7
	;; [unrolled: 1-line block ×3, first 2 shown]
	v_lshlrev_b32_e64 v8, v3, 1
	v_mul_f32_e32 v14, v12, v0
	v_add_co_u32_e32 v0, vcc, v4, v9
	v_mul_f32_e32 v5, v1, v5
	v_mul_f32_e32 v6, v1, v6
	v_addc_co_u32_e32 v1, vcc, 0, v13, vcc
	v_lshlrev_b32_e64 v3, v3, 2
	v_mul_f32_e32 v4, v12, v7
	v_mov_b32_e32 v11, 15
	s_waitcnt vmcnt(1)
	v_lshrrev_b16_e32 v12, 4, v2
	s_waitcnt vmcnt(0)
	v_and_b32_sdwa v9, v8, v10 dst_sel:DWORD dst_unused:UNUSED_PAD src0_sel:DWORD src1_sel:BYTE_0
	v_and_b32_sdwa v8, v8, v10 dst_sel:DWORD dst_unused:UNUSED_PAD src0_sel:DWORD src1_sel:BYTE_1
	v_cmp_eq_u32_e32 vcc, 0, v9
	v_and_b32_sdwa v13, v3, v10 dst_sel:DWORD dst_unused:UNUSED_PAD src0_sel:DWORD src1_sel:BYTE_0
	v_cndmask_b32_e64 v9, 16, 0, vcc
	v_cmp_eq_u32_e32 vcc, 0, v8
	v_and_b32_sdwa v3, v3, v10 dst_sel:DWORD dst_unused:UNUSED_PAD src0_sel:DWORD src1_sel:BYTE_1
	v_cndmask_b32_e64 v8, 16, 0, vcc
	v_cmp_eq_u32_e32 vcc, 0, v13
	v_and_b32_e32 v7, 15, v2
	v_and_b32_e32 v10, 15, v12
	v_cndmask_b32_e64 v12, 16, 0, vcc
	v_cmp_eq_u32_e32 vcc, 0, v3
	v_and_b32_sdwa v11, v2, v11 dst_sel:DWORD dst_unused:UNUSED_PAD src0_sel:BYTE_1 src1_sel:DWORD
	v_lshrrev_b16_e32 v2, 12, v2
	v_cndmask_b32_e64 v3, 16, 0, vcc
	v_or_b32_e32 v7, v9, v7
	v_or_b32_e32 v8, v8, v11
	;; [unrolled: 1-line block ×4, first 2 shown]
	v_cvt_f32_ubyte0_e32 v3, v7
	v_cvt_f32_ubyte0_e32 v7, v8
	;; [unrolled: 1-line block ×3, first 2 shown]
	v_fma_mixlo_f16 v3, v5, v3, -v14
	v_cvt_f32_ubyte0_e32 v2, v2
	v_fma_mixlo_f16 v8, v6, v8, -v4
	v_fma_mixhi_f16 v3, v5, v7, -v14
	v_fma_mixhi_f16 v8, v6, v2, -v4
	global_store_dword v[0:1], v3, off
	global_store_dword v[0:1], v8, off offset:64
	s_endpgm
	.section	.rodata,"a",@progbits
	.p2align	6, 0x0
	.amdhsa_kernel _ZL21dequantize_block_q5_KI6__halfEvPKvPT_
		.amdhsa_group_segment_fixed_size 0
		.amdhsa_private_segment_fixed_size 0
		.amdhsa_kernarg_size 16
		.amdhsa_user_sgpr_count 6
		.amdhsa_user_sgpr_private_segment_buffer 1
		.amdhsa_user_sgpr_dispatch_ptr 0
		.amdhsa_user_sgpr_queue_ptr 0
		.amdhsa_user_sgpr_kernarg_segment_ptr 1
		.amdhsa_user_sgpr_dispatch_id 0
		.amdhsa_user_sgpr_flat_scratch_init 0
		.amdhsa_user_sgpr_private_segment_size 0
		.amdhsa_uses_dynamic_stack 0
		.amdhsa_system_sgpr_private_segment_wavefront_offset 0
		.amdhsa_system_sgpr_workgroup_id_x 1
		.amdhsa_system_sgpr_workgroup_id_y 0
		.amdhsa_system_sgpr_workgroup_id_z 0
		.amdhsa_system_sgpr_workgroup_info 0
		.amdhsa_system_vgpr_workitem_id 0
		.amdhsa_next_free_vgpr 15
		.amdhsa_next_free_sgpr 9
		.amdhsa_reserve_vcc 1
		.amdhsa_reserve_flat_scratch 0
		.amdhsa_float_round_mode_32 0
		.amdhsa_float_round_mode_16_64 0
		.amdhsa_float_denorm_mode_32 3
		.amdhsa_float_denorm_mode_16_64 3
		.amdhsa_dx10_clamp 1
		.amdhsa_ieee_mode 1
		.amdhsa_fp16_overflow 0
		.amdhsa_exception_fp_ieee_invalid_op 0
		.amdhsa_exception_fp_denorm_src 0
		.amdhsa_exception_fp_ieee_div_zero 0
		.amdhsa_exception_fp_ieee_overflow 0
		.amdhsa_exception_fp_ieee_underflow 0
		.amdhsa_exception_fp_ieee_inexact 0
		.amdhsa_exception_int_div_zero 0
	.end_amdhsa_kernel
	.section	.text._ZL21dequantize_block_q5_KI6__halfEvPKvPT_,"axG",@progbits,_ZL21dequantize_block_q5_KI6__halfEvPKvPT_,comdat
.Lfunc_end7:
	.size	_ZL21dequantize_block_q5_KI6__halfEvPKvPT_, .Lfunc_end7-_ZL21dequantize_block_q5_KI6__halfEvPKvPT_
                                        ; -- End function
	.set _ZL21dequantize_block_q5_KI6__halfEvPKvPT_.num_vgpr, 15
	.set _ZL21dequantize_block_q5_KI6__halfEvPKvPT_.num_agpr, 0
	.set _ZL21dequantize_block_q5_KI6__halfEvPKvPT_.numbered_sgpr, 9
	.set _ZL21dequantize_block_q5_KI6__halfEvPKvPT_.num_named_barrier, 0
	.set _ZL21dequantize_block_q5_KI6__halfEvPKvPT_.private_seg_size, 0
	.set _ZL21dequantize_block_q5_KI6__halfEvPKvPT_.uses_vcc, 1
	.set _ZL21dequantize_block_q5_KI6__halfEvPKvPT_.uses_flat_scratch, 0
	.set _ZL21dequantize_block_q5_KI6__halfEvPKvPT_.has_dyn_sized_stack, 0
	.set _ZL21dequantize_block_q5_KI6__halfEvPKvPT_.has_recursion, 0
	.set _ZL21dequantize_block_q5_KI6__halfEvPKvPT_.has_indirect_call, 0
	.section	.AMDGPU.csdata,"",@progbits
; Kernel info:
; codeLenInByte = 680
; TotalNumSgprs: 13
; NumVgprs: 15
; ScratchSize: 0
; MemoryBound: 0
; FloatMode: 240
; IeeeMode: 1
; LDSByteSize: 0 bytes/workgroup (compile time only)
; SGPRBlocks: 1
; VGPRBlocks: 3
; NumSGPRsForWavesPerEU: 13
; NumVGPRsForWavesPerEU: 15
; Occupancy: 10
; WaveLimiterHint : 0
; COMPUTE_PGM_RSRC2:SCRATCH_EN: 0
; COMPUTE_PGM_RSRC2:USER_SGPR: 6
; COMPUTE_PGM_RSRC2:TRAP_HANDLER: 0
; COMPUTE_PGM_RSRC2:TGID_X_EN: 1
; COMPUTE_PGM_RSRC2:TGID_Y_EN: 0
; COMPUTE_PGM_RSRC2:TGID_Z_EN: 0
; COMPUTE_PGM_RSRC2:TIDIG_COMP_CNT: 0
	.section	.text._ZL21dequantize_block_q6_KI6__halfEvPKvPT_,"axG",@progbits,_ZL21dequantize_block_q6_KI6__halfEvPKvPT_,comdat
	.globl	_ZL21dequantize_block_q6_KI6__halfEvPKvPT_ ; -- Begin function _ZL21dequantize_block_q6_KI6__halfEvPKvPT_
	.p2align	8
	.type	_ZL21dequantize_block_q6_KI6__halfEvPKvPT_,@function
_ZL21dequantize_block_q6_KI6__halfEvPKvPT_: ; @_ZL21dequantize_block_q6_KI6__halfEvPKvPT_
; %bb.0:
	s_load_dwordx4 s[0:3], s[4:5], 0x0
	s_mov_b32 s7, 0
	s_lshl_b64 s[4:5], s[6:7], 9
	v_lshrrev_b32_e32 v5, 5, v0
	v_lshlrev_b32_e32 v1, 6, v5
	s_waitcnt lgkmcnt(0)
	s_add_u32 s2, s2, s4
	s_addc_u32 s3, s3, s5
	s_mul_i32 s5, s6, 0xd2
	s_mul_hi_u32 s4, s6, 0xd2
	s_add_u32 s0, s0, s5
	s_addc_u32 s1, s1, s4
	v_mov_b32_e32 v2, s1
	v_add_co_u32_e32 v7, vcc, s0, v1
	v_and_b32_e32 v6, 31, v0
	v_addc_co_u32_e32 v8, vcc, 0, v2, vcc
	v_mov_b32_e32 v3, 0
	v_add_co_u32_e32 v1, vcc, v7, v6
	v_addc_co_u32_e32 v2, vcc, 0, v8, vcc
	global_load_ushort v9, v3, s[0:1] offset:208
	global_load_ubyte v10, v0, s[0:1] offset:128
	v_mul_i32_i24_e32 v3, 0xffffffc8, v5
	v_bfe_u32 v4, v0, 4, 1
	v_mul_hi_i32_i24_e32 v0, 0xffffffc8, v5
	v_add_co_u32_e32 v3, vcc, v7, v3
	v_addc_co_u32_e32 v0, vcc, v8, v0, vcc
	v_add_co_u32_e32 v3, vcc, v3, v4
	v_addc_co_u32_e32 v4, vcc, 0, v0, vcc
	global_load_ubyte v7, v[1:2], off
	global_load_sbyte v8, v[3:4], off offset:192
	global_load_sbyte v11, v[3:4], off offset:194
	;; [unrolled: 1-line block ×4, first 2 shown]
	global_load_ubyte v14, v[1:2], off offset:32
	v_lshlrev_b32_e32 v0, 8, v5
	v_mov_b32_e32 v3, s3
	v_add_co_u32_e32 v0, vcc, s2, v0
	v_lshlrev_b32_e32 v1, 1, v6
	v_addc_co_u32_e32 v3, vcc, 0, v3, vcc
	v_add_co_u32_e32 v0, vcc, v0, v1
	v_addc_co_u32_e32 v1, vcc, 0, v3, vcc
	v_mov_b32_e32 v2, 32
	s_waitcnt vmcnt(7)
	v_cvt_f32_f16_e32 v3, v9
	s_waitcnt vmcnt(6)
	v_lshlrev_b16_e32 v4, 4, v10
	v_lshlrev_b16_e32 v5, 2, v10
	v_and_b32_e32 v6, 48, v10
	v_lshrrev_b16_e32 v9, 2, v10
	v_and_b32_e32 v4, 48, v4
	v_and_b32_e32 v5, 48, v5
	;; [unrolled: 1-line block ×3, first 2 shown]
	s_waitcnt vmcnt(5)
	v_and_b32_e32 v10, 15, v7
	v_lshrrev_b16_e32 v7, 4, v7
	v_or_b32_e32 v4, v10, v4
	s_waitcnt vmcnt(3)
	v_cvt_f32_i32_e32 v10, v11
	v_cvt_f32_i32_e32 v8, v8
	s_waitcnt vmcnt(0)
	v_and_b32_e32 v11, 15, v14
	v_or_b32_e32 v6, v7, v6
	v_cvt_f32_i32_e32 v7, v13
	v_lshrrev_b16_e32 v13, 4, v14
	v_sub_u32_sdwa v4, v4, v2 dst_sel:DWORD dst_unused:UNUSED_PAD src0_sel:WORD_0 src1_sel:DWORD
	v_or_b32_e32 v5, v11, v5
	v_cvt_f32_i32_e32 v12, v12
	v_sub_u32_sdwa v6, v6, v2 dst_sel:DWORD dst_unused:UNUSED_PAD src0_sel:WORD_0 src1_sel:DWORD
	v_or_b32_e32 v9, v13, v9
	v_cvt_f32_i32_e32 v4, v4
	v_sub_u32_sdwa v5, v5, v2 dst_sel:DWORD dst_unused:UNUSED_PAD src0_sel:WORD_0 src1_sel:DWORD
	v_cvt_f32_i32_e32 v6, v6
	v_sub_u32_sdwa v2, v9, v2 dst_sel:DWORD dst_unused:UNUSED_PAD src0_sel:WORD_0 src1_sel:DWORD
	v_cvt_f32_i32_e32 v5, v5
	v_cvt_f32_i32_e32 v2, v2
	v_mul_f32_e32 v8, v3, v8
	v_mul_f32_e32 v9, v3, v10
	;; [unrolled: 1-line block ×3, first 2 shown]
	v_fma_mixlo_f16 v4, v8, v4, 0
	v_mul_f32_e32 v3, v3, v7
	v_fma_mixlo_f16 v6, v10, v6, 0
	global_store_short v[0:1], v4, off
	v_fma_mixlo_f16 v4, v9, v5, 0
	global_store_short v[0:1], v6, off offset:128
	v_fma_mixlo_f16 v2, v3, v2, 0
	global_store_short v[0:1], v4, off offset:64
	global_store_short v[0:1], v2, off offset:192
	s_endpgm
	.section	.rodata,"a",@progbits
	.p2align	6, 0x0
	.amdhsa_kernel _ZL21dequantize_block_q6_KI6__halfEvPKvPT_
		.amdhsa_group_segment_fixed_size 0
		.amdhsa_private_segment_fixed_size 0
		.amdhsa_kernarg_size 16
		.amdhsa_user_sgpr_count 6
		.amdhsa_user_sgpr_private_segment_buffer 1
		.amdhsa_user_sgpr_dispatch_ptr 0
		.amdhsa_user_sgpr_queue_ptr 0
		.amdhsa_user_sgpr_kernarg_segment_ptr 1
		.amdhsa_user_sgpr_dispatch_id 0
		.amdhsa_user_sgpr_flat_scratch_init 0
		.amdhsa_user_sgpr_private_segment_size 0
		.amdhsa_uses_dynamic_stack 0
		.amdhsa_system_sgpr_private_segment_wavefront_offset 0
		.amdhsa_system_sgpr_workgroup_id_x 1
		.amdhsa_system_sgpr_workgroup_id_y 0
		.amdhsa_system_sgpr_workgroup_id_z 0
		.amdhsa_system_sgpr_workgroup_info 0
		.amdhsa_system_vgpr_workitem_id 0
		.amdhsa_next_free_vgpr 15
		.amdhsa_next_free_sgpr 8
		.amdhsa_reserve_vcc 1
		.amdhsa_reserve_flat_scratch 0
		.amdhsa_float_round_mode_32 0
		.amdhsa_float_round_mode_16_64 0
		.amdhsa_float_denorm_mode_32 3
		.amdhsa_float_denorm_mode_16_64 3
		.amdhsa_dx10_clamp 1
		.amdhsa_ieee_mode 1
		.amdhsa_fp16_overflow 0
		.amdhsa_exception_fp_ieee_invalid_op 0
		.amdhsa_exception_fp_denorm_src 0
		.amdhsa_exception_fp_ieee_div_zero 0
		.amdhsa_exception_fp_ieee_overflow 0
		.amdhsa_exception_fp_ieee_underflow 0
		.amdhsa_exception_fp_ieee_inexact 0
		.amdhsa_exception_int_div_zero 0
	.end_amdhsa_kernel
	.section	.text._ZL21dequantize_block_q6_KI6__halfEvPKvPT_,"axG",@progbits,_ZL21dequantize_block_q6_KI6__halfEvPKvPT_,comdat
.Lfunc_end8:
	.size	_ZL21dequantize_block_q6_KI6__halfEvPKvPT_, .Lfunc_end8-_ZL21dequantize_block_q6_KI6__halfEvPKvPT_
                                        ; -- End function
	.set _ZL21dequantize_block_q6_KI6__halfEvPKvPT_.num_vgpr, 15
	.set _ZL21dequantize_block_q6_KI6__halfEvPKvPT_.num_agpr, 0
	.set _ZL21dequantize_block_q6_KI6__halfEvPKvPT_.numbered_sgpr, 8
	.set _ZL21dequantize_block_q6_KI6__halfEvPKvPT_.num_named_barrier, 0
	.set _ZL21dequantize_block_q6_KI6__halfEvPKvPT_.private_seg_size, 0
	.set _ZL21dequantize_block_q6_KI6__halfEvPKvPT_.uses_vcc, 1
	.set _ZL21dequantize_block_q6_KI6__halfEvPKvPT_.uses_flat_scratch, 0
	.set _ZL21dequantize_block_q6_KI6__halfEvPKvPT_.has_dyn_sized_stack, 0
	.set _ZL21dequantize_block_q6_KI6__halfEvPKvPT_.has_recursion, 0
	.set _ZL21dequantize_block_q6_KI6__halfEvPKvPT_.has_indirect_call, 0
	.section	.AMDGPU.csdata,"",@progbits
; Kernel info:
; codeLenInByte = 456
; TotalNumSgprs: 12
; NumVgprs: 15
; ScratchSize: 0
; MemoryBound: 0
; FloatMode: 240
; IeeeMode: 1
; LDSByteSize: 0 bytes/workgroup (compile time only)
; SGPRBlocks: 1
; VGPRBlocks: 3
; NumSGPRsForWavesPerEU: 12
; NumVGPRsForWavesPerEU: 15
; Occupancy: 10
; WaveLimiterHint : 0
; COMPUTE_PGM_RSRC2:SCRATCH_EN: 0
; COMPUTE_PGM_RSRC2:USER_SGPR: 6
; COMPUTE_PGM_RSRC2:TRAP_HANDLER: 0
; COMPUTE_PGM_RSRC2:TGID_X_EN: 1
; COMPUTE_PGM_RSRC2:TGID_Y_EN: 0
; COMPUTE_PGM_RSRC2:TGID_Z_EN: 0
; COMPUTE_PGM_RSRC2:TIDIG_COMP_CNT: 0
	.section	.text._ZL24dequantize_block_iq2_xxsI6__halfEvPKvPT_,"axG",@progbits,_ZL24dequantize_block_iq2_xxsI6__halfEvPKvPT_,comdat
	.globl	_ZL24dequantize_block_iq2_xxsI6__halfEvPKvPT_ ; -- Begin function _ZL24dequantize_block_iq2_xxsI6__halfEvPKvPT_
	.p2align	8
	.type	_ZL24dequantize_block_iq2_xxsI6__halfEvPKvPT_,@function
_ZL24dequantize_block_iq2_xxsI6__halfEvPKvPT_: ; @_ZL24dequantize_block_iq2_xxsI6__halfEvPKvPT_
; %bb.0:
	s_load_dwordx4 s[0:3], s[4:5], 0x0
	s_mov_b32 s7, 0
	s_lshl_b64 s[4:5], s[6:7], 9
	v_and_b32_e32 v5, 7, v0
	v_lshlrev_b32_e32 v6, 3, v5
	s_waitcnt lgkmcnt(0)
	s_add_u32 s4, s2, s4
	s_addc_u32 s5, s3, s5
	s_mul_i32 s3, s6, 0x42
	s_mul_hi_u32 s2, s6, 0x42
	s_add_u32 s0, s0, s3
	s_addc_u32 s1, s1, s2
	v_mov_b32_e32 v1, s1
	v_add_co_u32_e32 v2, vcc, s0, v6
	v_lshrrev_b32_e32 v3, 3, v0
	v_addc_co_u32_e32 v7, vcc, 0, v1, vcc
	v_add_co_u32_e32 v1, vcc, v2, v3
	v_addc_co_u32_e32 v2, vcc, 0, v7, vcc
	v_mov_b32_e32 v4, 0
	global_load_ubyte v7, v[1:2], off offset:2
	global_load_ushort v8, v4, s[0:1]
	global_load_dword v9, v6, s[0:1] offset:6
	s_getpc_b64 s[0:1]
	s_add_u32 s0, s0, _ZL11iq2xxs_grid@rel32@lo+4
	s_addc_u32 s1, s1, _ZL11iq2xxs_grid@rel32@hi+12
	v_mul_u32_u24_e32 v1, 7, v3
	s_getpc_b64 s[2:3]
	s_add_u32 s2, s2, _ZL12ksigns_iq2xs@rel32@lo+4
	s_addc_u32 s3, s3, _ZL12ksigns_iq2xs@rel32@hi+12
	v_and_b32_e32 v0, 0x3f8, v0
	v_mov_b32_e32 v4, s5
	v_lshlrev_b32_e32 v0, 1, v0
	s_waitcnt vmcnt(2)
	v_lshlrev_b32_e32 v3, 3, v7
	s_waitcnt vmcnt(0)
	v_bfe_u32 v6, v9, v1, 7
	global_load_dwordx2 v[1:2], v3, s[0:1]
	global_load_sbyte v7, v6, s[2:3]
	v_lshlrev_b32_e32 v3, 6, v5
	v_add_co_u32_e32 v3, vcc, s4, v3
	v_addc_co_u32_e32 v5, vcc, 0, v4, vcc
	v_add_co_u32_e32 v4, vcc, v3, v0
	v_cvt_f32_f16_e32 v0, v8
	v_lshrrev_b32_e32 v3, 28, v9
	v_cvt_f32_ubyte0_e32 v3, v3
	v_add_f32_e32 v3, 0.5, v3
	v_mul_f32_e32 v0, v3, v0
	v_addc_co_u32_e32 v5, vcc, 0, v5, vcc
	v_mul_f32_e32 v0, 0x3e800000, v0
	s_waitcnt vmcnt(1)
	v_cvt_f32_ubyte0_e32 v3, v1
	s_waitcnt vmcnt(0)
	v_and_b32_e32 v8, 1, v7
	v_cvt_f32_ubyte1_e32 v9, v1
	v_and_b32_e32 v10, 2, v7
	v_cvt_f32_ubyte2_e32 v11, v1
	v_cvt_f32_ubyte3_e32 v1, v1
	v_cvt_f32_ubyte0_e32 v14, v2
	v_cvt_f32_ubyte1_e32 v16, v2
	v_cvt_f32_ubyte2_e32 v18, v2
	v_cvt_f32_ubyte3_e32 v2, v2
	v_mul_f32_e32 v3, v0, v3
	v_cmp_eq_u16_e32 vcc, 0, v8
	v_and_b32_e32 v12, 4, v7
	v_mul_f32_e32 v9, v0, v9
	v_mul_f32_e32 v11, v0, v11
	;; [unrolled: 1-line block ×7, first 2 shown]
	v_cndmask_b32_e64 v2, -v3, v3, vcc
	v_cmp_eq_u16_e32 vcc, 0, v10
	v_and_b32_e32 v13, 8, v7
	v_cndmask_b32_e64 v3, -v9, v9, vcc
	v_cmp_eq_u16_e32 vcc, 0, v12
	v_and_b32_e32 v15, 16, v7
	;; [unrolled: 3-line block ×3, first 2 shown]
	v_cndmask_b32_e64 v1, -v1, v1, vcc
	v_cmp_eq_u16_e32 vcc, 0, v15
	v_cndmask_b32_e64 v9, -v14, v14, vcc
	v_cmp_eq_u16_e32 vcc, 0, v17
	v_cndmask_b32_e64 v10, -v16, v16, vcc
	v_cmp_gt_u32_e32 vcc, 64, v6
	v_cndmask_b32_e64 v6, -v18, v18, vcc
	v_cmp_gt_i16_e32 vcc, 0, v7
	v_cndmask_b32_e64 v0, v0, -v0, vcc
	v_cvt_f16_f32_e32 v7, v2
	v_cvt_f16_f32_e32 v8, v8
	;; [unrolled: 1-line block ×8, first 2 shown]
	v_pack_b32_f16 v3, v6, v0
	v_pack_b32_f16 v2, v2, v9
	;; [unrolled: 1-line block ×4, first 2 shown]
	global_store_dwordx4 v[4:5], v[0:3], off
	s_endpgm
	.section	.rodata,"a",@progbits
	.p2align	6, 0x0
	.amdhsa_kernel _ZL24dequantize_block_iq2_xxsI6__halfEvPKvPT_
		.amdhsa_group_segment_fixed_size 0
		.amdhsa_private_segment_fixed_size 0
		.amdhsa_kernarg_size 16
		.amdhsa_user_sgpr_count 6
		.amdhsa_user_sgpr_private_segment_buffer 1
		.amdhsa_user_sgpr_dispatch_ptr 0
		.amdhsa_user_sgpr_queue_ptr 0
		.amdhsa_user_sgpr_kernarg_segment_ptr 1
		.amdhsa_user_sgpr_dispatch_id 0
		.amdhsa_user_sgpr_flat_scratch_init 0
		.amdhsa_user_sgpr_private_segment_size 0
		.amdhsa_uses_dynamic_stack 0
		.amdhsa_system_sgpr_private_segment_wavefront_offset 0
		.amdhsa_system_sgpr_workgroup_id_x 1
		.amdhsa_system_sgpr_workgroup_id_y 0
		.amdhsa_system_sgpr_workgroup_id_z 0
		.amdhsa_system_sgpr_workgroup_info 0
		.amdhsa_system_vgpr_workitem_id 0
		.amdhsa_next_free_vgpr 19
		.amdhsa_next_free_sgpr 8
		.amdhsa_reserve_vcc 1
		.amdhsa_reserve_flat_scratch 0
		.amdhsa_float_round_mode_32 0
		.amdhsa_float_round_mode_16_64 0
		.amdhsa_float_denorm_mode_32 3
		.amdhsa_float_denorm_mode_16_64 3
		.amdhsa_dx10_clamp 1
		.amdhsa_ieee_mode 1
		.amdhsa_fp16_overflow 0
		.amdhsa_exception_fp_ieee_invalid_op 0
		.amdhsa_exception_fp_denorm_src 0
		.amdhsa_exception_fp_ieee_div_zero 0
		.amdhsa_exception_fp_ieee_overflow 0
		.amdhsa_exception_fp_ieee_underflow 0
		.amdhsa_exception_fp_ieee_inexact 0
		.amdhsa_exception_int_div_zero 0
	.end_amdhsa_kernel
	.section	.text._ZL24dequantize_block_iq2_xxsI6__halfEvPKvPT_,"axG",@progbits,_ZL24dequantize_block_iq2_xxsI6__halfEvPKvPT_,comdat
.Lfunc_end9:
	.size	_ZL24dequantize_block_iq2_xxsI6__halfEvPKvPT_, .Lfunc_end9-_ZL24dequantize_block_iq2_xxsI6__halfEvPKvPT_
                                        ; -- End function
	.set _ZL24dequantize_block_iq2_xxsI6__halfEvPKvPT_.num_vgpr, 19
	.set _ZL24dequantize_block_iq2_xxsI6__halfEvPKvPT_.num_agpr, 0
	.set _ZL24dequantize_block_iq2_xxsI6__halfEvPKvPT_.numbered_sgpr, 8
	.set _ZL24dequantize_block_iq2_xxsI6__halfEvPKvPT_.num_named_barrier, 0
	.set _ZL24dequantize_block_iq2_xxsI6__halfEvPKvPT_.private_seg_size, 0
	.set _ZL24dequantize_block_iq2_xxsI6__halfEvPKvPT_.uses_vcc, 1
	.set _ZL24dequantize_block_iq2_xxsI6__halfEvPKvPT_.uses_flat_scratch, 0
	.set _ZL24dequantize_block_iq2_xxsI6__halfEvPKvPT_.has_dyn_sized_stack, 0
	.set _ZL24dequantize_block_iq2_xxsI6__halfEvPKvPT_.has_recursion, 0
	.set _ZL24dequantize_block_iq2_xxsI6__halfEvPKvPT_.has_indirect_call, 0
	.section	.AMDGPU.csdata,"",@progbits
; Kernel info:
; codeLenInByte = 524
; TotalNumSgprs: 12
; NumVgprs: 19
; ScratchSize: 0
; MemoryBound: 0
; FloatMode: 240
; IeeeMode: 1
; LDSByteSize: 0 bytes/workgroup (compile time only)
; SGPRBlocks: 1
; VGPRBlocks: 4
; NumSGPRsForWavesPerEU: 12
; NumVGPRsForWavesPerEU: 19
; Occupancy: 10
; WaveLimiterHint : 0
; COMPUTE_PGM_RSRC2:SCRATCH_EN: 0
; COMPUTE_PGM_RSRC2:USER_SGPR: 6
; COMPUTE_PGM_RSRC2:TRAP_HANDLER: 0
; COMPUTE_PGM_RSRC2:TGID_X_EN: 1
; COMPUTE_PGM_RSRC2:TGID_Y_EN: 0
; COMPUTE_PGM_RSRC2:TGID_Z_EN: 0
; COMPUTE_PGM_RSRC2:TIDIG_COMP_CNT: 0
	.section	.text._ZL23dequantize_block_iq2_xsI6__halfEvPKvPT_,"axG",@progbits,_ZL23dequantize_block_iq2_xsI6__halfEvPKvPT_,comdat
	.globl	_ZL23dequantize_block_iq2_xsI6__halfEvPKvPT_ ; -- Begin function _ZL23dequantize_block_iq2_xsI6__halfEvPKvPT_
	.p2align	8
	.type	_ZL23dequantize_block_iq2_xsI6__halfEvPKvPT_,@function
_ZL23dequantize_block_iq2_xsI6__halfEvPKvPT_: ; @_ZL23dequantize_block_iq2_xsI6__halfEvPKvPT_
; %bb.0:
	s_load_dwordx4 s[0:3], s[4:5], 0x0
	s_mov_b32 s7, 0
	s_lshl_b64 s[4:5], s[6:7], 9
	v_and_b32_e32 v5, 7, v0
	v_lshlrev_b32_e32 v1, 3, v5
	s_waitcnt lgkmcnt(0)
	s_add_u32 s7, s2, s4
	s_addc_u32 s8, s3, s5
	s_mul_i32 s3, s6, 0x4a
	s_mul_hi_u32 s2, s6, 0x4a
	s_add_u32 s0, s0, s3
	s_addc_u32 s1, s1, s2
	v_mov_b32_e32 v2, s1
	v_add_co_u32_e32 v1, vcc, s0, v1
	v_lshrrev_b32_e32 v6, 2, v0
	v_addc_co_u32_e32 v2, vcc, 0, v2, vcc
	v_and_b32_e32 v3, 0xfe, v6
	v_add_co_u32_e32 v1, vcc, v1, v3
	v_addc_co_u32_e32 v2, vcc, 0, v2, vcc
	global_load_ushort v7, v[1:2], off offset:2
	v_mov_b32_e32 v1, 0
	global_load_ushort v8, v1, s[0:1]
	global_load_ubyte v9, v5, s[0:1] offset:66
	s_getpc_b64 s[2:3]
	s_add_u32 s2, s2, _ZL10iq2xs_grid@rel32@lo+4
	s_addc_u32 s3, s3, _ZL10iq2xs_grid@rel32@hi+12
	v_mov_b32_e32 v2, 3
	s_getpc_b64 s[4:5]
	s_add_u32 s4, s4, _ZL12ksigns_iq2xs@rel32@lo+4
	s_addc_u32 s5, s5, _ZL12ksigns_iq2xs@rel32@hi+12
	v_mov_b32_e32 v3, s5
	v_and_b32_e32 v0, 0x3f8, v0
	v_lshlrev_b32_e32 v0, 1, v0
	s_waitcnt vmcnt(2)
	v_and_b32_e32 v1, 0x1ff, v7
	v_lshrrev_b16_e32 v4, 9, v7
	v_lshlrev_b32_sdwa v10, v2, v1 dst_sel:DWORD dst_unused:UNUSED_PAD src0_sel:DWORD src1_sel:WORD_0
	v_add_co_u32_e32 v1, vcc, s4, v4
	v_addc_co_u32_e32 v2, vcc, 0, v3, vcc
	global_load_dwordx2 v[3:4], v10, s[2:3]
	global_load_sbyte v11, v[1:2], off
	v_lshlrev_b32_e32 v1, 6, v5
	v_mov_b32_e32 v5, s8
	v_add_co_u32_e32 v1, vcc, s7, v1
	v_and_b32_e32 v2, 0xfc, v6
	v_addc_co_u32_e32 v6, vcc, 0, v5, vcc
	v_add_co_u32_e32 v5, vcc, v1, v0
	s_waitcnt vmcnt(3)
	v_cvt_f32_f16_e32 v0, v8
	s_waitcnt vmcnt(2)
	v_bfe_u32 v1, v9, v2, 4
	v_cvt_f32_ubyte0_e32 v1, v1
	v_add_f32_e32 v1, 0.5, v1
	v_mul_f32_e32 v0, v1, v0
	v_addc_co_u32_e32 v6, vcc, 0, v6, vcc
	v_mul_f32_e32 v0, 0x3e800000, v0
	s_waitcnt vmcnt(1)
	v_cvt_f32_ubyte0_e32 v1, v3
	s_waitcnt vmcnt(0)
	v_and_b32_e32 v2, 1, v11
	v_cvt_f32_ubyte1_e32 v8, v3
	v_and_b32_e32 v9, 2, v11
	v_mul_f32_e32 v1, v0, v1
	v_cmp_eq_u16_e32 vcc, 0, v2
	v_cvt_f32_ubyte2_e32 v10, v3
	v_and_b32_e32 v12, 4, v11
	v_mul_f32_e32 v8, v0, v8
	v_cndmask_b32_e64 v1, -v1, v1, vcc
	v_cmp_eq_u16_e32 vcc, 0, v9
	v_cvt_f32_ubyte3_e32 v3, v3
	v_and_b32_e32 v13, 8, v11
	v_cvt_f32_ubyte0_e32 v14, v4
	v_cvt_f32_ubyte1_e32 v16, v4
	v_cvt_f32_ubyte2_e32 v18, v4
	v_cvt_f32_ubyte3_e32 v4, v4
	v_mul_f32_e32 v10, v0, v10
	v_cndmask_b32_e64 v2, -v8, v8, vcc
	v_cmp_eq_u16_e32 vcc, 0, v12
	v_and_b32_e32 v15, 16, v11
	v_mul_f32_e32 v3, v0, v3
	v_mul_f32_e32 v14, v0, v14
	;; [unrolled: 1-line block ×5, first 2 shown]
	v_cndmask_b32_e64 v4, -v10, v10, vcc
	v_cmp_eq_u16_e32 vcc, 0, v13
	v_and_b32_e32 v17, 32, v11
	v_cndmask_b32_e64 v3, -v3, v3, vcc
	v_cmp_eq_u16_e32 vcc, 0, v15
	v_cndmask_b32_e64 v8, -v14, v14, vcc
	v_cmp_eq_u16_e32 vcc, 0, v17
	v_cndmask_b32_e64 v9, -v16, v16, vcc
	v_cmp_gt_i16_e32 vcc, 0, v7
	v_cndmask_b32_e64 v7, v18, -v18, vcc
	v_cmp_gt_i16_e32 vcc, 0, v11
	v_cndmask_b32_e64 v0, v0, -v0, vcc
	v_cvt_f16_f32_e32 v10, v1
	v_cvt_f16_f32_e32 v1, v4
	v_cvt_f16_f32_e32 v4, v8
	v_cvt_f16_f32_e32 v7, v7
	v_cvt_f16_f32_e32 v0, v0
	v_cvt_f16_f32_e32 v8, v9
	v_cvt_f16_f32_e32 v9, v3
	v_cvt_f16_f32_e32 v11, v2
	v_pack_b32_f16 v3, v7, v0
	v_pack_b32_f16 v2, v4, v8
	;; [unrolled: 1-line block ×4, first 2 shown]
	global_store_dwordx4 v[5:6], v[0:3], off
	s_endpgm
	.section	.rodata,"a",@progbits
	.p2align	6, 0x0
	.amdhsa_kernel _ZL23dequantize_block_iq2_xsI6__halfEvPKvPT_
		.amdhsa_group_segment_fixed_size 0
		.amdhsa_private_segment_fixed_size 0
		.amdhsa_kernarg_size 16
		.amdhsa_user_sgpr_count 6
		.amdhsa_user_sgpr_private_segment_buffer 1
		.amdhsa_user_sgpr_dispatch_ptr 0
		.amdhsa_user_sgpr_queue_ptr 0
		.amdhsa_user_sgpr_kernarg_segment_ptr 1
		.amdhsa_user_sgpr_dispatch_id 0
		.amdhsa_user_sgpr_flat_scratch_init 0
		.amdhsa_user_sgpr_private_segment_size 0
		.amdhsa_uses_dynamic_stack 0
		.amdhsa_system_sgpr_private_segment_wavefront_offset 0
		.amdhsa_system_sgpr_workgroup_id_x 1
		.amdhsa_system_sgpr_workgroup_id_y 0
		.amdhsa_system_sgpr_workgroup_id_z 0
		.amdhsa_system_sgpr_workgroup_info 0
		.amdhsa_system_vgpr_workitem_id 0
		.amdhsa_next_free_vgpr 19
		.amdhsa_next_free_sgpr 9
		.amdhsa_reserve_vcc 1
		.amdhsa_reserve_flat_scratch 0
		.amdhsa_float_round_mode_32 0
		.amdhsa_float_round_mode_16_64 0
		.amdhsa_float_denorm_mode_32 3
		.amdhsa_float_denorm_mode_16_64 3
		.amdhsa_dx10_clamp 1
		.amdhsa_ieee_mode 1
		.amdhsa_fp16_overflow 0
		.amdhsa_exception_fp_ieee_invalid_op 0
		.amdhsa_exception_fp_denorm_src 0
		.amdhsa_exception_fp_ieee_div_zero 0
		.amdhsa_exception_fp_ieee_overflow 0
		.amdhsa_exception_fp_ieee_underflow 0
		.amdhsa_exception_fp_ieee_inexact 0
		.amdhsa_exception_int_div_zero 0
	.end_amdhsa_kernel
	.section	.text._ZL23dequantize_block_iq2_xsI6__halfEvPKvPT_,"axG",@progbits,_ZL23dequantize_block_iq2_xsI6__halfEvPKvPT_,comdat
.Lfunc_end10:
	.size	_ZL23dequantize_block_iq2_xsI6__halfEvPKvPT_, .Lfunc_end10-_ZL23dequantize_block_iq2_xsI6__halfEvPKvPT_
                                        ; -- End function
	.set _ZL23dequantize_block_iq2_xsI6__halfEvPKvPT_.num_vgpr, 19
	.set _ZL23dequantize_block_iq2_xsI6__halfEvPKvPT_.num_agpr, 0
	.set _ZL23dequantize_block_iq2_xsI6__halfEvPKvPT_.numbered_sgpr, 9
	.set _ZL23dequantize_block_iq2_xsI6__halfEvPKvPT_.num_named_barrier, 0
	.set _ZL23dequantize_block_iq2_xsI6__halfEvPKvPT_.private_seg_size, 0
	.set _ZL23dequantize_block_iq2_xsI6__halfEvPKvPT_.uses_vcc, 1
	.set _ZL23dequantize_block_iq2_xsI6__halfEvPKvPT_.uses_flat_scratch, 0
	.set _ZL23dequantize_block_iq2_xsI6__halfEvPKvPT_.has_dyn_sized_stack, 0
	.set _ZL23dequantize_block_iq2_xsI6__halfEvPKvPT_.has_recursion, 0
	.set _ZL23dequantize_block_iq2_xsI6__halfEvPKvPT_.has_indirect_call, 0
	.section	.AMDGPU.csdata,"",@progbits
; Kernel info:
; codeLenInByte = 568
; TotalNumSgprs: 13
; NumVgprs: 19
; ScratchSize: 0
; MemoryBound: 0
; FloatMode: 240
; IeeeMode: 1
; LDSByteSize: 0 bytes/workgroup (compile time only)
; SGPRBlocks: 1
; VGPRBlocks: 4
; NumSGPRsForWavesPerEU: 13
; NumVGPRsForWavesPerEU: 19
; Occupancy: 10
; WaveLimiterHint : 0
; COMPUTE_PGM_RSRC2:SCRATCH_EN: 0
; COMPUTE_PGM_RSRC2:USER_SGPR: 6
; COMPUTE_PGM_RSRC2:TRAP_HANDLER: 0
; COMPUTE_PGM_RSRC2:TGID_X_EN: 1
; COMPUTE_PGM_RSRC2:TGID_Y_EN: 0
; COMPUTE_PGM_RSRC2:TGID_Z_EN: 0
; COMPUTE_PGM_RSRC2:TIDIG_COMP_CNT: 0
	.section	.text._ZL22dequantize_block_iq2_sI6__halfEvPKvPT_,"axG",@progbits,_ZL22dequantize_block_iq2_sI6__halfEvPKvPT_,comdat
	.globl	_ZL22dequantize_block_iq2_sI6__halfEvPKvPT_ ; -- Begin function _ZL22dequantize_block_iq2_sI6__halfEvPKvPT_
	.p2align	8
	.type	_ZL22dequantize_block_iq2_sI6__halfEvPKvPT_,@function
_ZL22dequantize_block_iq2_sI6__halfEvPKvPT_: ; @_ZL22dequantize_block_iq2_sI6__halfEvPKvPT_
; %bb.0:
	s_load_dwordx4 s[0:3], s[4:5], 0x0
	s_mov_b32 s7, 0
	s_lshl_b64 s[4:5], s[6:7], 9
	v_and_b32_e32 v4, 7, v0
	v_lshlrev_b32_e32 v1, 2, v4
	s_waitcnt lgkmcnt(0)
	s_add_u32 s2, s2, s4
	s_addc_u32 s3, s3, s5
	s_mul_i32 s5, s6, 0x52
	s_mul_hi_u32 s4, s6, 0x52
	s_add_u32 s0, s0, s5
	s_addc_u32 s1, s1, s4
	v_mov_b32_e32 v2, s1
	v_add_co_u32_e32 v1, vcc, s0, v1
	v_lshrrev_b32_e32 v3, 3, v0
	v_addc_co_u32_e32 v2, vcc, 0, v2, vcc
	v_add_co_u32_e32 v1, vcc, v1, v3
	v_addc_co_u32_e32 v2, vcc, 0, v2, vcc
	global_load_ubyte v5, v4, s[0:1] offset:66
	global_load_ubyte v6, v[1:2], off offset:2
	v_mov_b32_e32 v7, 0
	global_load_ushort v8, v7, s[0:1]
	global_load_sbyte v9, v[1:2], off offset:34
	global_load_ubyte v10, v4, s[0:1] offset:74
	v_lshlrev_b32_e32 v1, 1, v3
	v_sub_u32_e32 v1, 8, v1
	s_movk_i32 s4, 0x300
	s_getpc_b64 s[0:1]
	s_add_u32 s0, s0, _ZL9iq2s_grid@rel32@lo+4
	s_addc_u32 s1, s1, _ZL9iq2s_grid@rel32@hi+12
	v_lshlrev_b32_e32 v4, 6, v4
	v_and_b32_e32 v3, 0x3f8, v0
	v_add_co_u32_e32 v4, vcc, s2, v4
	v_lshrrev_b32_e32 v0, 2, v0
	v_lshlrev_b32_e32 v3, 1, v3
	v_and_b32_e32 v0, 0xfc, v0
	s_waitcnt vmcnt(4)
	v_lshlrev_b32_e32 v1, v1, v5
	s_waitcnt vmcnt(3)
	v_and_or_b32 v1, v1, s4, v6
	v_lshlrev_b32_e32 v1, 3, v1
	global_load_dwordx2 v[1:2], v1, s[0:1]
	v_mov_b32_e32 v5, s3
	v_addc_co_u32_e32 v5, vcc, 0, v5, vcc
	v_add_co_u32_e32 v4, vcc, v4, v3
	s_waitcnt vmcnt(3)
	v_cvt_f32_f16_e32 v3, v8
	s_waitcnt vmcnt(1)
	v_bfe_u32 v0, v10, v0, 4
	v_cvt_f32_ubyte0_e32 v0, v0
	v_add_f32_e32 v0, 0.5, v0
	v_mul_f32_e32 v0, v0, v3
	v_addc_co_u32_e32 v5, vcc, 0, v5, vcc
	v_and_b32_e32 v6, 1, v9
	v_mul_f32_e32 v0, 0x3e800000, v0
	v_and_b32_e32 v7, 2, v9
	v_cmp_eq_u16_e32 vcc, 0, v6
	v_and_b32_e32 v8, 4, v9
	v_and_b32_e32 v10, 8, v9
	;; [unrolled: 1-line block ×5, first 2 shown]
	s_waitcnt vmcnt(0)
	v_cvt_f32_ubyte0_e32 v3, v1
	v_cvt_f32_ubyte1_e32 v14, v1
	v_cvt_f32_ubyte2_e32 v15, v1
	v_cvt_f32_ubyte3_e32 v1, v1
	v_cvt_f32_ubyte0_e32 v16, v2
	v_cvt_f32_ubyte1_e32 v17, v2
	v_cvt_f32_ubyte2_e32 v18, v2
	v_cvt_f32_ubyte3_e32 v2, v2
	v_mul_f32_e32 v3, v0, v3
	v_mul_f32_e32 v14, v0, v14
	;; [unrolled: 1-line block ×8, first 2 shown]
	v_cndmask_b32_e64 v2, -v3, v3, vcc
	v_cmp_eq_u16_e32 vcc, 0, v7
	v_cndmask_b32_e64 v3, -v14, v14, vcc
	v_cmp_eq_u16_e32 vcc, 0, v8
	v_cndmask_b32_e64 v6, -v15, v15, vcc
	v_cmp_eq_u16_e32 vcc, 0, v10
	v_cndmask_b32_e64 v1, -v1, v1, vcc
	v_cmp_eq_u16_e32 vcc, 0, v11
	v_cndmask_b32_e64 v7, -v16, v16, vcc
	v_cmp_eq_u16_e32 vcc, 0, v12
	v_cndmask_b32_e64 v8, -v17, v17, vcc
	v_cmp_eq_u16_e32 vcc, 0, v13
	v_cndmask_b32_e64 v10, -v18, v18, vcc
	v_cmp_gt_i16_e32 vcc, 0, v9
	v_cndmask_b32_e64 v0, v0, -v0, vcc
	v_cvt_f16_f32_e32 v9, v2
	v_cvt_f16_f32_e32 v6, v6
	;; [unrolled: 1-line block ×8, first 2 shown]
	v_pack_b32_f16 v3, v7, v0
	v_pack_b32_f16 v2, v2, v8
	;; [unrolled: 1-line block ×4, first 2 shown]
	global_store_dwordx4 v[4:5], v[0:3], off
	s_endpgm
	.section	.rodata,"a",@progbits
	.p2align	6, 0x0
	.amdhsa_kernel _ZL22dequantize_block_iq2_sI6__halfEvPKvPT_
		.amdhsa_group_segment_fixed_size 0
		.amdhsa_private_segment_fixed_size 0
		.amdhsa_kernarg_size 16
		.amdhsa_user_sgpr_count 6
		.amdhsa_user_sgpr_private_segment_buffer 1
		.amdhsa_user_sgpr_dispatch_ptr 0
		.amdhsa_user_sgpr_queue_ptr 0
		.amdhsa_user_sgpr_kernarg_segment_ptr 1
		.amdhsa_user_sgpr_dispatch_id 0
		.amdhsa_user_sgpr_flat_scratch_init 0
		.amdhsa_user_sgpr_private_segment_size 0
		.amdhsa_uses_dynamic_stack 0
		.amdhsa_system_sgpr_private_segment_wavefront_offset 0
		.amdhsa_system_sgpr_workgroup_id_x 1
		.amdhsa_system_sgpr_workgroup_id_y 0
		.amdhsa_system_sgpr_workgroup_id_z 0
		.amdhsa_system_sgpr_workgroup_info 0
		.amdhsa_system_vgpr_workitem_id 0
		.amdhsa_next_free_vgpr 19
		.amdhsa_next_free_sgpr 8
		.amdhsa_reserve_vcc 1
		.amdhsa_reserve_flat_scratch 0
		.amdhsa_float_round_mode_32 0
		.amdhsa_float_round_mode_16_64 0
		.amdhsa_float_denorm_mode_32 3
		.amdhsa_float_denorm_mode_16_64 3
		.amdhsa_dx10_clamp 1
		.amdhsa_ieee_mode 1
		.amdhsa_fp16_overflow 0
		.amdhsa_exception_fp_ieee_invalid_op 0
		.amdhsa_exception_fp_denorm_src 0
		.amdhsa_exception_fp_ieee_div_zero 0
		.amdhsa_exception_fp_ieee_overflow 0
		.amdhsa_exception_fp_ieee_underflow 0
		.amdhsa_exception_fp_ieee_inexact 0
		.amdhsa_exception_int_div_zero 0
	.end_amdhsa_kernel
	.section	.text._ZL22dequantize_block_iq2_sI6__halfEvPKvPT_,"axG",@progbits,_ZL22dequantize_block_iq2_sI6__halfEvPKvPT_,comdat
.Lfunc_end11:
	.size	_ZL22dequantize_block_iq2_sI6__halfEvPKvPT_, .Lfunc_end11-_ZL22dequantize_block_iq2_sI6__halfEvPKvPT_
                                        ; -- End function
	.set _ZL22dequantize_block_iq2_sI6__halfEvPKvPT_.num_vgpr, 19
	.set _ZL22dequantize_block_iq2_sI6__halfEvPKvPT_.num_agpr, 0
	.set _ZL22dequantize_block_iq2_sI6__halfEvPKvPT_.numbered_sgpr, 8
	.set _ZL22dequantize_block_iq2_sI6__halfEvPKvPT_.num_named_barrier, 0
	.set _ZL22dequantize_block_iq2_sI6__halfEvPKvPT_.private_seg_size, 0
	.set _ZL22dequantize_block_iq2_sI6__halfEvPKvPT_.uses_vcc, 1
	.set _ZL22dequantize_block_iq2_sI6__halfEvPKvPT_.uses_flat_scratch, 0
	.set _ZL22dequantize_block_iq2_sI6__halfEvPKvPT_.has_dyn_sized_stack, 0
	.set _ZL22dequantize_block_iq2_sI6__halfEvPKvPT_.has_recursion, 0
	.set _ZL22dequantize_block_iq2_sI6__halfEvPKvPT_.has_indirect_call, 0
	.section	.AMDGPU.csdata,"",@progbits
; Kernel info:
; codeLenInByte = 548
; TotalNumSgprs: 12
; NumVgprs: 19
; ScratchSize: 0
; MemoryBound: 0
; FloatMode: 240
; IeeeMode: 1
; LDSByteSize: 0 bytes/workgroup (compile time only)
; SGPRBlocks: 1
; VGPRBlocks: 4
; NumSGPRsForWavesPerEU: 12
; NumVGPRsForWavesPerEU: 19
; Occupancy: 10
; WaveLimiterHint : 0
; COMPUTE_PGM_RSRC2:SCRATCH_EN: 0
; COMPUTE_PGM_RSRC2:USER_SGPR: 6
; COMPUTE_PGM_RSRC2:TRAP_HANDLER: 0
; COMPUTE_PGM_RSRC2:TGID_X_EN: 1
; COMPUTE_PGM_RSRC2:TGID_Y_EN: 0
; COMPUTE_PGM_RSRC2:TGID_Z_EN: 0
; COMPUTE_PGM_RSRC2:TIDIG_COMP_CNT: 0
	.section	.text._ZL24dequantize_block_iq3_xxsI6__halfEvPKvPT_,"axG",@progbits,_ZL24dequantize_block_iq3_xxsI6__halfEvPKvPT_,comdat
	.globl	_ZL24dequantize_block_iq3_xxsI6__halfEvPKvPT_ ; -- Begin function _ZL24dequantize_block_iq3_xxsI6__halfEvPKvPT_
	.p2align	8
	.type	_ZL24dequantize_block_iq3_xxsI6__halfEvPKvPT_,@function
_ZL24dequantize_block_iq3_xxsI6__halfEvPKvPT_: ; @_ZL24dequantize_block_iq3_xxsI6__halfEvPKvPT_
; %bb.0:
	s_load_dwordx4 s[0:3], s[4:5], 0x0
	s_mov_b32 s7, 0
	s_lshl_b64 s[4:5], s[6:7], 9
	v_and_b32_e32 v6, 7, v0
	v_lshlrev_b32_e32 v1, 3, v6
	s_waitcnt lgkmcnt(0)
	s_add_u32 s4, s2, s4
	s_addc_u32 s5, s3, s5
	s_mul_i32 s3, s6, 0x62
	s_mul_hi_u32 s2, s6, 0x62
	s_add_u32 s0, s0, s3
	s_addc_u32 s1, s1, s2
	v_mov_b32_e32 v2, s1
	v_add_co_u32_e32 v3, vcc, s0, v1
	v_addc_co_u32_e32 v4, vcc, 0, v2, vcc
	v_lshlrev_b32_e32 v1, 2, v6
	v_sub_co_u32_e32 v1, vcc, 0, v1
	v_lshrrev_b32_e32 v5, 3, v0
	v_subb_co_u32_e64 v2, s[2:3], 0, 0, vcc
	v_add_co_u32_e32 v1, vcc, v3, v1
	v_addc_co_u32_e32 v2, vcc, v4, v2, vcc
	v_lshlrev_b32_e32 v8, 1, v5
	v_add_co_u32_e32 v3, vcc, v3, v8
	v_addc_co_u32_e32 v4, vcc, 0, v4, vcc
	v_mov_b32_e32 v7, 0
	global_load_ushort v8, v[3:4], off offset:2
	global_load_ushort v9, v7, s[0:1]
	global_load_dword v10, v[1:2], off offset:66
	v_mov_b32_e32 v1, 2
	s_getpc_b64 s[0:1]
	s_add_u32 s0, s0, _ZL11iq3xxs_grid@rel32@lo+4
	s_addc_u32 s1, s1, _ZL11iq3xxs_grid@rel32@hi+12
	v_mul_u32_u24_e32 v2, 7, v5
	s_getpc_b64 s[2:3]
	s_add_u32 s2, s2, _ZL12ksigns_iq2xs@rel32@lo+4
	s_addc_u32 s3, s3, _ZL12ksigns_iq2xs@rel32@hi+12
	v_and_b32_e32 v0, 0x3f8, v0
	v_lshlrev_b32_e32 v0, 1, v0
	s_waitcnt vmcnt(2)
	v_lshlrev_b32_sdwa v3, v1, v8 dst_sel:DWORD dst_unused:UNUSED_PAD src0_sel:DWORD src1_sel:BYTE_0
	v_lshlrev_b32_sdwa v1, v1, v8 dst_sel:DWORD dst_unused:UNUSED_PAD src0_sel:DWORD src1_sel:BYTE_1
	s_waitcnt vmcnt(0)
	v_bfe_u32 v2, v10, v2, 7
	global_load_dword v7, v3, s[0:1]
	global_load_sbyte v8, v2, s[2:3]
	global_load_dword v11, v1, s[0:1]
	v_lshlrev_b32_e32 v1, 6, v6
	v_mov_b32_e32 v3, s5
	v_add_co_u32_e32 v1, vcc, s4, v1
	v_addc_co_u32_e32 v3, vcc, 0, v3, vcc
	v_add_co_u32_e32 v4, vcc, v1, v0
	v_cvt_f32_f16_e32 v0, v9
	v_lshrrev_b32_e32 v1, 28, v10
	v_cvt_f32_ubyte0_e32 v1, v1
	v_add_f32_e32 v1, 0.5, v1
	v_mul_f32_e32 v0, v1, v0
	v_addc_co_u32_e32 v5, vcc, 0, v3, vcc
	v_mul_f32_e32 v0, 0.5, v0
	s_waitcnt vmcnt(2)
	v_cvt_f32_ubyte0_e32 v1, v7
	s_waitcnt vmcnt(1)
	v_and_b32_e32 v3, 1, v8
	s_waitcnt vmcnt(0)
	v_cvt_f32_ubyte0_e32 v6, v11
	v_and_b32_e32 v9, 16, v8
	v_mul_f32_e32 v1, v0, v1
	v_cmp_eq_u16_e32 vcc, 0, v3
	v_cvt_f32_ubyte1_e32 v10, v7
	v_and_b32_e32 v12, 2, v8
	v_mul_f32_e32 v6, v0, v6
	v_cndmask_b32_e64 v1, -v1, v1, vcc
	v_cmp_eq_u16_e32 vcc, 0, v9
	v_cvt_f32_ubyte1_e32 v13, v11
	v_and_b32_e32 v14, 32, v8
	v_mul_f32_e32 v10, v0, v10
	v_cndmask_b32_e64 v3, -v6, v6, vcc
	v_cmp_eq_u16_e32 vcc, 0, v12
	v_cvt_f32_ubyte2_e32 v15, v7
	v_and_b32_e32 v16, 4, v8
	v_mul_f32_e32 v13, v0, v13
	v_cndmask_b32_e64 v6, -v10, v10, vcc
	v_cmp_eq_u16_e32 vcc, 0, v14
	v_cvt_f32_ubyte2_e32 v17, v11
	v_mul_f32_e32 v15, v0, v15
	v_cndmask_b32_e64 v9, -v13, v13, vcc
	v_cmp_eq_u16_e32 vcc, 0, v16
	v_cvt_f32_ubyte3_e32 v7, v7
	v_and_b32_e32 v18, 8, v8
	v_mul_f32_e32 v17, v0, v17
	v_cndmask_b32_e64 v10, -v15, v15, vcc
	v_cmp_gt_u32_e32 vcc, 64, v2
	v_cvt_f32_ubyte3_e32 v11, v11
	v_mul_f32_e32 v7, v0, v7
	v_cndmask_b32_e64 v2, -v17, v17, vcc
	v_cmp_eq_u16_e32 vcc, 0, v18
	v_mul_f32_e32 v0, v0, v11
	v_cndmask_b32_e64 v7, -v7, v7, vcc
	v_cmp_gt_i16_e32 vcc, 0, v8
	v_cndmask_b32_e64 v0, v0, -v0, vcc
	v_cvt_f16_f32_e32 v8, v1
	v_cvt_f16_f32_e32 v1, v3
	;; [unrolled: 1-line block ×8, first 2 shown]
	v_pack_b32_f16 v3, v2, v0
	v_pack_b32_f16 v2, v1, v9
	;; [unrolled: 1-line block ×4, first 2 shown]
	global_store_dwordx4 v[4:5], v[0:3], off
	s_endpgm
	.section	.rodata,"a",@progbits
	.p2align	6, 0x0
	.amdhsa_kernel _ZL24dequantize_block_iq3_xxsI6__halfEvPKvPT_
		.amdhsa_group_segment_fixed_size 0
		.amdhsa_private_segment_fixed_size 0
		.amdhsa_kernarg_size 16
		.amdhsa_user_sgpr_count 6
		.amdhsa_user_sgpr_private_segment_buffer 1
		.amdhsa_user_sgpr_dispatch_ptr 0
		.amdhsa_user_sgpr_queue_ptr 0
		.amdhsa_user_sgpr_kernarg_segment_ptr 1
		.amdhsa_user_sgpr_dispatch_id 0
		.amdhsa_user_sgpr_flat_scratch_init 0
		.amdhsa_user_sgpr_private_segment_size 0
		.amdhsa_uses_dynamic_stack 0
		.amdhsa_system_sgpr_private_segment_wavefront_offset 0
		.amdhsa_system_sgpr_workgroup_id_x 1
		.amdhsa_system_sgpr_workgroup_id_y 0
		.amdhsa_system_sgpr_workgroup_id_z 0
		.amdhsa_system_sgpr_workgroup_info 0
		.amdhsa_system_vgpr_workitem_id 0
		.amdhsa_next_free_vgpr 19
		.amdhsa_next_free_sgpr 8
		.amdhsa_reserve_vcc 1
		.amdhsa_reserve_flat_scratch 0
		.amdhsa_float_round_mode_32 0
		.amdhsa_float_round_mode_16_64 0
		.amdhsa_float_denorm_mode_32 3
		.amdhsa_float_denorm_mode_16_64 3
		.amdhsa_dx10_clamp 1
		.amdhsa_ieee_mode 1
		.amdhsa_fp16_overflow 0
		.amdhsa_exception_fp_ieee_invalid_op 0
		.amdhsa_exception_fp_denorm_src 0
		.amdhsa_exception_fp_ieee_div_zero 0
		.amdhsa_exception_fp_ieee_overflow 0
		.amdhsa_exception_fp_ieee_underflow 0
		.amdhsa_exception_fp_ieee_inexact 0
		.amdhsa_exception_int_div_zero 0
	.end_amdhsa_kernel
	.section	.text._ZL24dequantize_block_iq3_xxsI6__halfEvPKvPT_,"axG",@progbits,_ZL24dequantize_block_iq3_xxsI6__halfEvPKvPT_,comdat
.Lfunc_end12:
	.size	_ZL24dequantize_block_iq3_xxsI6__halfEvPKvPT_, .Lfunc_end12-_ZL24dequantize_block_iq3_xxsI6__halfEvPKvPT_
                                        ; -- End function
	.set _ZL24dequantize_block_iq3_xxsI6__halfEvPKvPT_.num_vgpr, 19
	.set _ZL24dequantize_block_iq3_xxsI6__halfEvPKvPT_.num_agpr, 0
	.set _ZL24dequantize_block_iq3_xxsI6__halfEvPKvPT_.numbered_sgpr, 8
	.set _ZL24dequantize_block_iq3_xxsI6__halfEvPKvPT_.num_named_barrier, 0
	.set _ZL24dequantize_block_iq3_xxsI6__halfEvPKvPT_.private_seg_size, 0
	.set _ZL24dequantize_block_iq3_xxsI6__halfEvPKvPT_.uses_vcc, 1
	.set _ZL24dequantize_block_iq3_xxsI6__halfEvPKvPT_.uses_flat_scratch, 0
	.set _ZL24dequantize_block_iq3_xxsI6__halfEvPKvPT_.has_dyn_sized_stack, 0
	.set _ZL24dequantize_block_iq3_xxsI6__halfEvPKvPT_.has_recursion, 0
	.set _ZL24dequantize_block_iq3_xxsI6__halfEvPKvPT_.has_indirect_call, 0
	.section	.AMDGPU.csdata,"",@progbits
; Kernel info:
; codeLenInByte = 576
; TotalNumSgprs: 12
; NumVgprs: 19
; ScratchSize: 0
; MemoryBound: 0
; FloatMode: 240
; IeeeMode: 1
; LDSByteSize: 0 bytes/workgroup (compile time only)
; SGPRBlocks: 1
; VGPRBlocks: 4
; NumSGPRsForWavesPerEU: 12
; NumVGPRsForWavesPerEU: 19
; Occupancy: 10
; WaveLimiterHint : 0
; COMPUTE_PGM_RSRC2:SCRATCH_EN: 0
; COMPUTE_PGM_RSRC2:USER_SGPR: 6
; COMPUTE_PGM_RSRC2:TRAP_HANDLER: 0
; COMPUTE_PGM_RSRC2:TGID_X_EN: 1
; COMPUTE_PGM_RSRC2:TGID_Y_EN: 0
; COMPUTE_PGM_RSRC2:TGID_Z_EN: 0
; COMPUTE_PGM_RSRC2:TIDIG_COMP_CNT: 0
	.section	.text._ZL22dequantize_block_iq1_sI6__halfEvPKvPT_,"axG",@progbits,_ZL22dequantize_block_iq1_sI6__halfEvPKvPT_,comdat
	.globl	_ZL22dequantize_block_iq1_sI6__halfEvPKvPT_ ; -- Begin function _ZL22dequantize_block_iq1_sI6__halfEvPKvPT_
	.p2align	8
	.type	_ZL22dequantize_block_iq1_sI6__halfEvPKvPT_,@function
_ZL22dequantize_block_iq1_sI6__halfEvPKvPT_: ; @_ZL22dequantize_block_iq1_sI6__halfEvPKvPT_
; %bb.0:
	s_load_dwordx4 s[0:3], s[4:5], 0x0
	s_mov_b32 s7, 0
	s_lshl_b64 s[4:5], s[6:7], 9
	v_and_b32_e32 v4, 7, v0
	v_lshlrev_b32_e32 v1, 1, v4
	s_waitcnt lgkmcnt(0)
	s_add_u32 s2, s2, s4
	s_addc_u32 s3, s3, s5
	s_mul_i32 s5, s6, 50
	s_mul_hi_u32 s4, s6, 50
	s_add_u32 s0, s0, s5
	s_addc_u32 s1, s1, s4
	v_mov_b32_e32 v2, s1
	v_add_co_u32_e32 v5, vcc, s0, v1
	v_addc_co_u32_e32 v2, vcc, 0, v2, vcc
	global_load_ushort v6, v1, s[0:1] offset:34
	v_add_co_u32_e32 v1, vcc, v5, v1
	v_lshrrev_b32_e32 v3, 3, v0
	v_addc_co_u32_e32 v2, vcc, 0, v2, vcc
	v_add_co_u32_e32 v1, vcc, v1, v3
	v_addc_co_u32_e32 v2, vcc, 0, v2, vcc
	global_load_ubyte v1, v[1:2], off offset:2
	v_mov_b32_e32 v2, 0
	v_mul_u32_u24_e32 v3, 3, v3
	global_load_ushort v2, v2, s[0:1]
	s_movk_i32 s4, 0x700
	s_getpc_b64 s[0:1]
	s_add_u32 s0, s0, _ZL13iq1s_grid_gpu@rel32@lo+4
	s_addc_u32 s1, s1, _ZL13iq1s_grid_gpu@rel32@hi+12
	v_lshlrev_b32_e32 v4, 6, v4
	v_and_b32_e32 v0, 0x3f8, v0
	v_mov_b32_e32 v5, s3
	v_add_co_u32_e32 v4, vcc, s2, v4
	v_lshlrev_b32_e32 v0, 1, v0
	v_addc_co_u32_e32 v5, vcc, 0, v5, vcc
	v_add_co_u32_e32 v4, vcc, v4, v0
	v_addc_co_u32_e32 v5, vcc, 0, v5, vcc
	v_mov_b32_e32 v7, 0xbf600000
	s_waitcnt vmcnt(2)
	v_lshrrev_b32_sdwa v3, v3, v6 dst_sel:DWORD dst_unused:UNUSED_PAD src0_sel:DWORD src1_sel:WORD_0
	v_lshlrev_b32_e32 v3, 8, v3
	v_cmp_lt_i16_e32 vcc, -1, v6
	s_waitcnt vmcnt(1)
	v_and_or_b32 v1, v3, s4, v1
	v_lshlrev_b32_e32 v1, 2, v1
	global_load_dword v1, v1, s[0:1]
	v_mov_b32_e32 v3, 0xbf900000
	v_cndmask_b32_e32 v0, v3, v7, vcc
	s_waitcnt vmcnt(1)
	v_cvt_f32_f16_e32 v2, v2
	v_lshrrev_b16_e32 v3, 11, v6
	v_and_b32_e32 v3, 14, v3
	v_or_b32_e32 v3, 1, v3
	v_cvt_f32_ubyte0_e32 v3, v3
	v_mul_f32_e32 v6, v2, v3
	s_waitcnt vmcnt(0)
	v_and_b32_e32 v2, 0xf000000, v1
	v_and_b32_e32 v3, 15, v1
	v_bfe_u32 v8, v1, 16, 4
	v_bfe_u32 v9, v1, 4, 4
	;; [unrolled: 1-line block ×5, first 2 shown]
	v_lshrrev_b32_e32 v1, 28, v1
	v_cvt_f32_ubyte0_e32 v3, v3
	v_cvt_f32_ubyte0_e32 v8, v8
	v_cvt_f32_ubyte3_e32 v2, v2
	v_cvt_f32_ubyte0_e32 v9, v9
	v_cvt_f32_ubyte0_e32 v10, v10
	;; [unrolled: 1-line block ×5, first 2 shown]
	v_add_f32_e32 v3, v0, v3
	v_add_f32_e32 v8, v0, v8
	;; [unrolled: 1-line block ×8, first 2 shown]
	v_fma_mixlo_f16 v0, v6, v3, 0
	v_fma_mixlo_f16 v1, v6, v8, 0
	;; [unrolled: 1-line block ×4, first 2 shown]
	v_fma_mixhi_f16 v3, v6, v11, 0
	v_fma_mixhi_f16 v2, v6, v9, 0
	;; [unrolled: 1-line block ×4, first 2 shown]
	global_store_dwordx4 v[4:5], v[0:3], off
	s_endpgm
	.section	.rodata,"a",@progbits
	.p2align	6, 0x0
	.amdhsa_kernel _ZL22dequantize_block_iq1_sI6__halfEvPKvPT_
		.amdhsa_group_segment_fixed_size 0
		.amdhsa_private_segment_fixed_size 0
		.amdhsa_kernarg_size 16
		.amdhsa_user_sgpr_count 6
		.amdhsa_user_sgpr_private_segment_buffer 1
		.amdhsa_user_sgpr_dispatch_ptr 0
		.amdhsa_user_sgpr_queue_ptr 0
		.amdhsa_user_sgpr_kernarg_segment_ptr 1
		.amdhsa_user_sgpr_dispatch_id 0
		.amdhsa_user_sgpr_flat_scratch_init 0
		.amdhsa_user_sgpr_private_segment_size 0
		.amdhsa_uses_dynamic_stack 0
		.amdhsa_system_sgpr_private_segment_wavefront_offset 0
		.amdhsa_system_sgpr_workgroup_id_x 1
		.amdhsa_system_sgpr_workgroup_id_y 0
		.amdhsa_system_sgpr_workgroup_id_z 0
		.amdhsa_system_sgpr_workgroup_info 0
		.amdhsa_system_vgpr_workitem_id 0
		.amdhsa_next_free_vgpr 13
		.amdhsa_next_free_sgpr 8
		.amdhsa_reserve_vcc 1
		.amdhsa_reserve_flat_scratch 0
		.amdhsa_float_round_mode_32 0
		.amdhsa_float_round_mode_16_64 0
		.amdhsa_float_denorm_mode_32 3
		.amdhsa_float_denorm_mode_16_64 3
		.amdhsa_dx10_clamp 1
		.amdhsa_ieee_mode 1
		.amdhsa_fp16_overflow 0
		.amdhsa_exception_fp_ieee_invalid_op 0
		.amdhsa_exception_fp_denorm_src 0
		.amdhsa_exception_fp_ieee_div_zero 0
		.amdhsa_exception_fp_ieee_overflow 0
		.amdhsa_exception_fp_ieee_underflow 0
		.amdhsa_exception_fp_ieee_inexact 0
		.amdhsa_exception_int_div_zero 0
	.end_amdhsa_kernel
	.section	.text._ZL22dequantize_block_iq1_sI6__halfEvPKvPT_,"axG",@progbits,_ZL22dequantize_block_iq1_sI6__halfEvPKvPT_,comdat
.Lfunc_end13:
	.size	_ZL22dequantize_block_iq1_sI6__halfEvPKvPT_, .Lfunc_end13-_ZL22dequantize_block_iq1_sI6__halfEvPKvPT_
                                        ; -- End function
	.set _ZL22dequantize_block_iq1_sI6__halfEvPKvPT_.num_vgpr, 13
	.set _ZL22dequantize_block_iq1_sI6__halfEvPKvPT_.num_agpr, 0
	.set _ZL22dequantize_block_iq1_sI6__halfEvPKvPT_.numbered_sgpr, 8
	.set _ZL22dequantize_block_iq1_sI6__halfEvPKvPT_.num_named_barrier, 0
	.set _ZL22dequantize_block_iq1_sI6__halfEvPKvPT_.private_seg_size, 0
	.set _ZL22dequantize_block_iq1_sI6__halfEvPKvPT_.uses_vcc, 1
	.set _ZL22dequantize_block_iq1_sI6__halfEvPKvPT_.uses_flat_scratch, 0
	.set _ZL22dequantize_block_iq1_sI6__halfEvPKvPT_.has_dyn_sized_stack, 0
	.set _ZL22dequantize_block_iq1_sI6__halfEvPKvPT_.has_recursion, 0
	.set _ZL22dequantize_block_iq1_sI6__halfEvPKvPT_.has_indirect_call, 0
	.section	.AMDGPU.csdata,"",@progbits
; Kernel info:
; codeLenInByte = 468
; TotalNumSgprs: 12
; NumVgprs: 13
; ScratchSize: 0
; MemoryBound: 0
; FloatMode: 240
; IeeeMode: 1
; LDSByteSize: 0 bytes/workgroup (compile time only)
; SGPRBlocks: 1
; VGPRBlocks: 3
; NumSGPRsForWavesPerEU: 12
; NumVGPRsForWavesPerEU: 13
; Occupancy: 10
; WaveLimiterHint : 0
; COMPUTE_PGM_RSRC2:SCRATCH_EN: 0
; COMPUTE_PGM_RSRC2:USER_SGPR: 6
; COMPUTE_PGM_RSRC2:TRAP_HANDLER: 0
; COMPUTE_PGM_RSRC2:TGID_X_EN: 1
; COMPUTE_PGM_RSRC2:TGID_Y_EN: 0
; COMPUTE_PGM_RSRC2:TGID_Z_EN: 0
; COMPUTE_PGM_RSRC2:TIDIG_COMP_CNT: 0
	.section	.text._ZL22dequantize_block_iq1_mI6__halfEvPKvPT_,"axG",@progbits,_ZL22dequantize_block_iq1_mI6__halfEvPKvPT_,comdat
	.globl	_ZL22dequantize_block_iq1_mI6__halfEvPKvPT_ ; -- Begin function _ZL22dequantize_block_iq1_mI6__halfEvPKvPT_
	.p2align	8
	.type	_ZL22dequantize_block_iq1_mI6__halfEvPKvPT_,@function
_ZL22dequantize_block_iq1_mI6__halfEvPKvPT_: ; @_ZL22dequantize_block_iq1_mI6__halfEvPKvPT_
; %bb.0:
	s_load_dwordx4 s[0:3], s[4:5], 0x0
	s_mov_b32 s7, 0
	s_lshl_b64 s[4:5], s[6:7], 9
	v_and_b32_e32 v5, 7, v0
	v_lshlrev_b32_e32 v2, 2, v5
	s_waitcnt lgkmcnt(0)
	s_add_u32 s2, s2, s4
	s_addc_u32 s3, s3, s5
	s_mul_i32 s5, s6, 56
	s_mul_hi_u32 s4, s6, 56
	s_add_u32 s0, s0, s5
	s_addc_u32 s1, s1, s4
	v_mov_b32_e32 v7, s1
	v_add_co_u32_e32 v2, vcc, s0, v2
	v_lshrrev_b32_e32 v1, 3, v0
	v_addc_co_u32_e32 v7, vcc, 0, v7, vcc
	v_add_co_u32_e32 v1, vcc, v2, v1
	v_lshlrev_b32_e32 v3, 1, v5
	v_lshrrev_b32_e32 v4, 4, v0
	v_addc_co_u32_e32 v2, vcc, 0, v7, vcc
	v_add_u32_e32 v6, v3, v4
	global_load_ubyte v7, v[1:2], off
	global_load_ubyte v8, v6, s[0:1] offset:32
	v_mov_b32_e32 v1, 0
	v_add_u16_e32 v3, v3, v4
	global_load_dwordx2 v[1:2], v1, s[0:1] offset:48
	v_lshrrev_b16_e32 v3, 1, v3
	v_and_b32_e32 v3, 62, v3
	v_mov_b32_e32 v4, s1
	v_add_co_u32_e32 v3, vcc, s0, v3
	v_addc_co_u32_e32 v4, vcc, 0, v4, vcc
	global_load_ushort v3, v[3:4], off offset:48
	v_lshrrev_b32_e32 v4, 1, v0
	v_and_b32_e32 v4, 4, v4
	s_movk_i32 s4, 0x700
	s_getpc_b64 s[0:1]
	s_add_u32 s0, s0, _ZL13iq1s_grid_gpu@rel32@lo+4
	s_addc_u32 s1, s1, _ZL13iq1s_grid_gpu@rel32@hi+12
	v_and_b32_e32 v0, 0x3f8, v0
	v_lshlrev_b32_e32 v0, 1, v0
	v_mov_b32_e32 v9, 0xbf900000
	v_mov_b32_e32 v10, 0xbf600000
	s_waitcnt vmcnt(2)
	v_lshrrev_b32_e32 v8, v4, v8
	v_lshlrev_b32_e32 v4, 8, v8
	v_and_or_b32 v4, v4, s4, v7
	v_lshlrev_b32_e32 v4, 2, v4
	global_load_dword v7, v4, s[0:1]
	v_lshlrev_b32_e32 v4, 6, v5
	v_and_b32_e32 v5, 3, v6
	s_waitcnt vmcnt(2)
	v_readfirstlane_b32 s0, v1
	v_mul_u32_u24_e32 v6, 3, v5
	v_mov_b32_e32 v5, s3
	v_readfirstlane_b32 s1, v2
	s_bfe_u32 s3, s0, 0x4000c
	s_lshr_b32 s0, s0, 24
	v_add_co_u32_e32 v4, vcc, s2, v4
	s_lshr_b32 s2, s1, 16
	s_lshr_b32 s1, s1, 4
	s_and_b32 s0, s0, 0xf0
	s_and_b32 s1, s1, 0xf00
	s_or_b32 s0, s0, s3
	s_and_b32 s2, s2, 0xf000
	s_or_b32 s0, s0, s1
	v_addc_co_u32_e32 v5, vcc, 0, v5, vcc
	s_or_b32 s0, s0, s2
	v_add_co_u32_e32 v4, vcc, v4, v0
	s_waitcnt vmcnt(1)
	v_lshrrev_b32_e32 v0, v6, v3
	v_cvt_f32_f16_e32 v2, s0
	v_lshlrev_b32_e32 v0, 1, v0
	v_addc_co_u32_e32 v5, vcc, 0, v5, vcc
	v_and_or_b32 v0, v0, 14, 1
	v_and_b32_e32 v1, 8, v8
	v_cvt_f32_ubyte0_e32 v0, v0
	v_cmp_eq_u32_e32 vcc, 0, v1
	v_cndmask_b32_e32 v1, v9, v10, vcc
	v_mul_f32_e32 v6, v2, v0
	s_waitcnt vmcnt(0)
	v_and_b32_e32 v2, 15, v7
	v_bfe_u32 v3, v7, 8, 4
	v_bfe_u32 v8, v7, 16, 4
	;; [unrolled: 1-line block ×4, first 2 shown]
	v_and_b32_e32 v0, 0xf000000, v7
	v_bfe_u32 v10, v7, 12, 4
	v_lshrrev_b32_e32 v7, 28, v7
	v_cvt_f32_ubyte0_e32 v2, v2
	v_cvt_f32_ubyte0_e32 v3, v3
	;; [unrolled: 1-line block ×5, first 2 shown]
	v_cvt_f32_ubyte3_e32 v0, v0
	v_cvt_f32_ubyte0_e32 v10, v10
	v_cvt_f32_ubyte0_e32 v7, v7
	v_add_f32_e32 v2, v1, v2
	v_add_f32_e32 v12, v1, v3
	v_add_f32_e32 v3, v1, v8
	v_add_f32_e32 v9, v1, v9
	v_add_f32_e32 v11, v1, v11
	v_add_f32_e32 v8, v1, v0
	v_add_f32_e32 v10, v1, v10
	v_add_f32_e32 v7, v1, v7
	v_fma_mixlo_f16 v0, v6, v2, 0
	v_fma_mixlo_f16 v1, v6, v3, 0
	v_fma_mixlo_f16 v2, v6, v9, 0
	v_fma_mixlo_f16 v3, v6, v11, 0
	v_fma_mixhi_f16 v3, v6, v7, 0
	v_fma_mixhi_f16 v2, v6, v10, 0
	;; [unrolled: 1-line block ×4, first 2 shown]
	global_store_dwordx4 v[4:5], v[0:3], off
	s_endpgm
	.section	.rodata,"a",@progbits
	.p2align	6, 0x0
	.amdhsa_kernel _ZL22dequantize_block_iq1_mI6__halfEvPKvPT_
		.amdhsa_group_segment_fixed_size 0
		.amdhsa_private_segment_fixed_size 0
		.amdhsa_kernarg_size 16
		.amdhsa_user_sgpr_count 6
		.amdhsa_user_sgpr_private_segment_buffer 1
		.amdhsa_user_sgpr_dispatch_ptr 0
		.amdhsa_user_sgpr_queue_ptr 0
		.amdhsa_user_sgpr_kernarg_segment_ptr 1
		.amdhsa_user_sgpr_dispatch_id 0
		.amdhsa_user_sgpr_flat_scratch_init 0
		.amdhsa_user_sgpr_private_segment_size 0
		.amdhsa_uses_dynamic_stack 0
		.amdhsa_system_sgpr_private_segment_wavefront_offset 0
		.amdhsa_system_sgpr_workgroup_id_x 1
		.amdhsa_system_sgpr_workgroup_id_y 0
		.amdhsa_system_sgpr_workgroup_id_z 0
		.amdhsa_system_sgpr_workgroup_info 0
		.amdhsa_system_vgpr_workitem_id 0
		.amdhsa_next_free_vgpr 13
		.amdhsa_next_free_sgpr 8
		.amdhsa_reserve_vcc 1
		.amdhsa_reserve_flat_scratch 0
		.amdhsa_float_round_mode_32 0
		.amdhsa_float_round_mode_16_64 0
		.amdhsa_float_denorm_mode_32 3
		.amdhsa_float_denorm_mode_16_64 3
		.amdhsa_dx10_clamp 1
		.amdhsa_ieee_mode 1
		.amdhsa_fp16_overflow 0
		.amdhsa_exception_fp_ieee_invalid_op 0
		.amdhsa_exception_fp_denorm_src 0
		.amdhsa_exception_fp_ieee_div_zero 0
		.amdhsa_exception_fp_ieee_overflow 0
		.amdhsa_exception_fp_ieee_underflow 0
		.amdhsa_exception_fp_ieee_inexact 0
		.amdhsa_exception_int_div_zero 0
	.end_amdhsa_kernel
	.section	.text._ZL22dequantize_block_iq1_mI6__halfEvPKvPT_,"axG",@progbits,_ZL22dequantize_block_iq1_mI6__halfEvPKvPT_,comdat
.Lfunc_end14:
	.size	_ZL22dequantize_block_iq1_mI6__halfEvPKvPT_, .Lfunc_end14-_ZL22dequantize_block_iq1_mI6__halfEvPKvPT_
                                        ; -- End function
	.set _ZL22dequantize_block_iq1_mI6__halfEvPKvPT_.num_vgpr, 13
	.set _ZL22dequantize_block_iq1_mI6__halfEvPKvPT_.num_agpr, 0
	.set _ZL22dequantize_block_iq1_mI6__halfEvPKvPT_.numbered_sgpr, 8
	.set _ZL22dequantize_block_iq1_mI6__halfEvPKvPT_.num_named_barrier, 0
	.set _ZL22dequantize_block_iq1_mI6__halfEvPKvPT_.private_seg_size, 0
	.set _ZL22dequantize_block_iq1_mI6__halfEvPKvPT_.uses_vcc, 1
	.set _ZL22dequantize_block_iq1_mI6__halfEvPKvPT_.uses_flat_scratch, 0
	.set _ZL22dequantize_block_iq1_mI6__halfEvPKvPT_.has_dyn_sized_stack, 0
	.set _ZL22dequantize_block_iq1_mI6__halfEvPKvPT_.has_recursion, 0
	.set _ZL22dequantize_block_iq1_mI6__halfEvPKvPT_.has_indirect_call, 0
	.section	.AMDGPU.csdata,"",@progbits
; Kernel info:
; codeLenInByte = 584
; TotalNumSgprs: 12
; NumVgprs: 13
; ScratchSize: 0
; MemoryBound: 0
; FloatMode: 240
; IeeeMode: 1
; LDSByteSize: 0 bytes/workgroup (compile time only)
; SGPRBlocks: 1
; VGPRBlocks: 3
; NumSGPRsForWavesPerEU: 12
; NumVGPRsForWavesPerEU: 13
; Occupancy: 10
; WaveLimiterHint : 0
; COMPUTE_PGM_RSRC2:SCRATCH_EN: 0
; COMPUTE_PGM_RSRC2:USER_SGPR: 6
; COMPUTE_PGM_RSRC2:TRAP_HANDLER: 0
; COMPUTE_PGM_RSRC2:TGID_X_EN: 1
; COMPUTE_PGM_RSRC2:TGID_Y_EN: 0
; COMPUTE_PGM_RSRC2:TGID_Z_EN: 0
; COMPUTE_PGM_RSRC2:TIDIG_COMP_CNT: 0
	.section	.text._ZL23dequantize_block_iq4_nlI6__halfEvPKvPT_,"axG",@progbits,_ZL23dequantize_block_iq4_nlI6__halfEvPKvPT_,comdat
	.globl	_ZL23dequantize_block_iq4_nlI6__halfEvPKvPT_ ; -- Begin function _ZL23dequantize_block_iq4_nlI6__halfEvPKvPT_
	.p2align	8
	.type	_ZL23dequantize_block_iq4_nlI6__halfEvPKvPT_,@function
_ZL23dequantize_block_iq4_nlI6__halfEvPKvPT_: ; @_ZL23dequantize_block_iq4_nlI6__halfEvPKvPT_
; %bb.0:
	s_load_dwordx4 s[0:3], s[4:5], 0x0
	s_mul_i32 s5, s6, 0x90
	s_mul_hi_u32 s4, s6, 0x90
	v_and_b32_e32 v5, 7, v0
	v_lshrrev_b32_e32 v0, 1, v0
	s_waitcnt lgkmcnt(0)
	s_add_u32 s0, s0, s5
	s_addc_u32 s1, s1, s4
	v_mad_u64_u32 v[1:2], s[0:1], v5, 18, s[0:1]
	v_and_b32_e32 v6, 0x1fc, v0
	s_mov_b32 s7, 0
	v_add_co_u32_e32 v3, vcc, v1, v6
	v_addc_co_u32_e32 v4, vcc, 0, v2, vcc
	global_load_dword v0, v[3:4], off offset:2
	global_load_ushort v7, v[1:2], off
	s_lshl_b64 s[0:1], s[6:7], 9
	s_add_u32 s2, s2, s0
	v_mov_b32_e32 v1, 4
	s_addc_u32 s3, s3, s1
	s_getpc_b64 s[0:1]
	s_add_u32 s0, s0, _ZL13kvalues_iq4nl@rel32@lo+4
	s_addc_u32 s1, s1, _ZL13kvalues_iq4nl@rel32@hi+12
	v_mov_b32_e32 v4, s1
	s_waitcnt vmcnt(1)
	v_lshrrev_b32_e32 v2, 8, v0
	v_and_b32_e32 v3, 15, v0
	v_lshrrev_b16_e32 v8, 4, v0
	v_bfe_u32 v9, v0, 8, 4
	v_bfe_u32 v10, v0, 16, 4
	;; [unrolled: 1-line block ×4, first 2 shown]
	v_lshrrev_b16_sdwa v0, v1, v0 dst_sel:DWORD dst_unused:UNUSED_PAD src0_sel:DWORD src1_sel:BYTE_3
	global_load_sbyte v13, v3, s[0:1]
	v_and_b32_e32 v3, 15, v8
	v_add_co_u32_e32 v0, vcc, s0, v0
	v_lshrrev_b16_e32 v2, 4, v2
	v_addc_co_u32_e32 v1, vcc, 0, v4, vcc
	v_and_b32_e32 v3, 0xffff, v3
	v_and_b32_e32 v8, 15, v2
	v_add_co_u32_e32 v2, vcc, s0, v3
	v_addc_co_u32_e32 v3, vcc, 0, v4, vcc
	v_and_b32_e32 v8, 0xffff, v8
	global_load_sbyte v14, v[2:3], off
	global_load_sbyte v15, v9, s[0:1]
	v_add_co_u32_e32 v2, vcc, s0, v8
	v_addc_co_u32_e32 v3, vcc, 0, v4, vcc
	global_load_sbyte v4, v[2:3], off
	global_load_sbyte v8, v10, s[0:1]
	global_load_sbyte v9, v11, s[0:1]
	;; [unrolled: 1-line block ×3, first 2 shown]
	global_load_sbyte v17, v[0:1], off
	v_lshlrev_b32_e32 v0, 6, v5
	v_mov_b32_e32 v2, s3
	v_add_co_u32_e32 v0, vcc, s2, v0
	v_lshlrev_b32_e32 v1, 1, v6
	v_addc_co_u32_e32 v2, vcc, 0, v2, vcc
	v_add_co_u32_e32 v0, vcc, v0, v1
	v_addc_co_u32_e32 v1, vcc, 0, v2, vcc
	s_waitcnt vmcnt(7)
	v_cvt_f32_i32_e32 v3, v13
	v_fma_mixlo_f16 v2, v7, v3, 0 op_sel_hi:[1,0,0]
	s_waitcnt vmcnt(6)
	v_cvt_f32_i32_e32 v5, v14
	s_waitcnt vmcnt(5)
	v_cvt_f32_i32_e32 v6, v15
	;; [unrolled: 2-line block ×7, first 2 shown]
	v_fma_mixlo_f16 v3, v7, v3, 0 op_sel_hi:[1,0,0]
	v_fma_mixlo_f16 v4, v7, v5, 0 op_sel_hi:[1,0,0]
	v_fma_mixhi_f16 v2, v7, v6, 0 op_sel_hi:[1,0,0]
	v_fma_mixlo_f16 v5, v7, v8, 0 op_sel_hi:[1,0,0]
	v_fma_mixhi_f16 v3, v7, v9, 0 op_sel_hi:[1,0,0]
	v_fma_mixhi_f16 v4, v7, v10, 0 op_sel_hi:[1,0,0]
	;; [unrolled: 1-line block ×3, first 2 shown]
	global_store_dwordx2 v[0:1], v[2:3], off
	global_store_dwordx2 v[0:1], v[4:5], off offset:32
	s_endpgm
	.section	.rodata,"a",@progbits
	.p2align	6, 0x0
	.amdhsa_kernel _ZL23dequantize_block_iq4_nlI6__halfEvPKvPT_
		.amdhsa_group_segment_fixed_size 0
		.amdhsa_private_segment_fixed_size 0
		.amdhsa_kernarg_size 16
		.amdhsa_user_sgpr_count 6
		.amdhsa_user_sgpr_private_segment_buffer 1
		.amdhsa_user_sgpr_dispatch_ptr 0
		.amdhsa_user_sgpr_queue_ptr 0
		.amdhsa_user_sgpr_kernarg_segment_ptr 1
		.amdhsa_user_sgpr_dispatch_id 0
		.amdhsa_user_sgpr_flat_scratch_init 0
		.amdhsa_user_sgpr_private_segment_size 0
		.amdhsa_uses_dynamic_stack 0
		.amdhsa_system_sgpr_private_segment_wavefront_offset 0
		.amdhsa_system_sgpr_workgroup_id_x 1
		.amdhsa_system_sgpr_workgroup_id_y 0
		.amdhsa_system_sgpr_workgroup_id_z 0
		.amdhsa_system_sgpr_workgroup_info 0
		.amdhsa_system_vgpr_workitem_id 0
		.amdhsa_next_free_vgpr 18
		.amdhsa_next_free_sgpr 8
		.amdhsa_reserve_vcc 1
		.amdhsa_reserve_flat_scratch 0
		.amdhsa_float_round_mode_32 0
		.amdhsa_float_round_mode_16_64 0
		.amdhsa_float_denorm_mode_32 3
		.amdhsa_float_denorm_mode_16_64 3
		.amdhsa_dx10_clamp 1
		.amdhsa_ieee_mode 1
		.amdhsa_fp16_overflow 0
		.amdhsa_exception_fp_ieee_invalid_op 0
		.amdhsa_exception_fp_denorm_src 0
		.amdhsa_exception_fp_ieee_div_zero 0
		.amdhsa_exception_fp_ieee_overflow 0
		.amdhsa_exception_fp_ieee_underflow 0
		.amdhsa_exception_fp_ieee_inexact 0
		.amdhsa_exception_int_div_zero 0
	.end_amdhsa_kernel
	.section	.text._ZL23dequantize_block_iq4_nlI6__halfEvPKvPT_,"axG",@progbits,_ZL23dequantize_block_iq4_nlI6__halfEvPKvPT_,comdat
.Lfunc_end15:
	.size	_ZL23dequantize_block_iq4_nlI6__halfEvPKvPT_, .Lfunc_end15-_ZL23dequantize_block_iq4_nlI6__halfEvPKvPT_
                                        ; -- End function
	.set _ZL23dequantize_block_iq4_nlI6__halfEvPKvPT_.num_vgpr, 18
	.set _ZL23dequantize_block_iq4_nlI6__halfEvPKvPT_.num_agpr, 0
	.set _ZL23dequantize_block_iq4_nlI6__halfEvPKvPT_.numbered_sgpr, 8
	.set _ZL23dequantize_block_iq4_nlI6__halfEvPKvPT_.num_named_barrier, 0
	.set _ZL23dequantize_block_iq4_nlI6__halfEvPKvPT_.private_seg_size, 0
	.set _ZL23dequantize_block_iq4_nlI6__halfEvPKvPT_.uses_vcc, 1
	.set _ZL23dequantize_block_iq4_nlI6__halfEvPKvPT_.uses_flat_scratch, 0
	.set _ZL23dequantize_block_iq4_nlI6__halfEvPKvPT_.has_dyn_sized_stack, 0
	.set _ZL23dequantize_block_iq4_nlI6__halfEvPKvPT_.has_recursion, 0
	.set _ZL23dequantize_block_iq4_nlI6__halfEvPKvPT_.has_indirect_call, 0
	.section	.AMDGPU.csdata,"",@progbits
; Kernel info:
; codeLenInByte = 476
; TotalNumSgprs: 12
; NumVgprs: 18
; ScratchSize: 0
; MemoryBound: 0
; FloatMode: 240
; IeeeMode: 1
; LDSByteSize: 0 bytes/workgroup (compile time only)
; SGPRBlocks: 1
; VGPRBlocks: 4
; NumSGPRsForWavesPerEU: 12
; NumVGPRsForWavesPerEU: 18
; Occupancy: 10
; WaveLimiterHint : 0
; COMPUTE_PGM_RSRC2:SCRATCH_EN: 0
; COMPUTE_PGM_RSRC2:USER_SGPR: 6
; COMPUTE_PGM_RSRC2:TRAP_HANDLER: 0
; COMPUTE_PGM_RSRC2:TGID_X_EN: 1
; COMPUTE_PGM_RSRC2:TGID_Y_EN: 0
; COMPUTE_PGM_RSRC2:TGID_Z_EN: 0
; COMPUTE_PGM_RSRC2:TIDIG_COMP_CNT: 0
	.section	.text._ZL23dequantize_block_iq4_xsI6__halfEvPKvPT_,"axG",@progbits,_ZL23dequantize_block_iq4_xsI6__halfEvPKvPT_,comdat
	.globl	_ZL23dequantize_block_iq4_xsI6__halfEvPKvPT_ ; -- Begin function _ZL23dequantize_block_iq4_xsI6__halfEvPKvPT_
	.p2align	8
	.type	_ZL23dequantize_block_iq4_xsI6__halfEvPKvPT_,@function
_ZL23dequantize_block_iq4_xsI6__halfEvPKvPT_: ; @_ZL23dequantize_block_iq4_xsI6__halfEvPKvPT_
; %bb.0:
	s_load_dwordx4 s[0:3], s[4:5], 0x0
	s_mov_b32 s7, 0
	s_lshl_b64 s[4:5], s[6:7], 9
	v_and_b32_e32 v1, 7, v0
	v_lshlrev_b32_e32 v3, 4, v1
	s_waitcnt lgkmcnt(0)
	s_add_u32 s2, s2, s4
	s_addc_u32 s3, s3, s5
	s_mul_i32 s5, s6, 0x88
	s_mul_hi_u32 s4, s6, 0x88
	s_add_u32 s0, s0, s5
	s_addc_u32 s1, s1, s4
	v_lshrrev_b32_e32 v2, 1, v0
	v_mov_b32_e32 v4, s1
	v_add_co_u32_e32 v3, vcc, s0, v3
	v_and_b32_e32 v2, 0x1fc, v2
	v_addc_co_u32_e32 v4, vcc, 0, v4, vcc
	v_add_co_u32_e32 v3, vcc, v3, v2
	v_addc_co_u32_e32 v4, vcc, 0, v4, vcc
	global_load_dword v3, v[3:4], off offset:8
	v_mov_b32_e32 v4, 0
	v_bfe_u32 v5, v0, 1, 2
	global_load_dword v7, v4, s[0:1]
	global_load_ubyte v8, v5, s[0:1] offset:4
	v_mov_b32_e32 v4, 4
	s_getpc_b64 s[0:1]
	s_add_u32 s0, s0, _ZL13kvalues_iq4nl@rel32@lo+4
	s_addc_u32 s1, s1, _ZL13kvalues_iq4nl@rel32@hi+12
	v_mov_b32_e32 v9, s1
	v_lshlrev_b32_e32 v0, 2, v0
	v_and_b32_e32 v0, 4, v0
	v_lshlrev_b32_e32 v2, 1, v2
	s_waitcnt vmcnt(2)
	v_lshrrev_b32_e32 v5, 8, v3
	v_and_b32_e32 v10, 15, v3
	v_lshrrev_b16_e32 v6, 4, v3
	v_bfe_u32 v11, v3, 8, 4
	v_bfe_u32 v12, v3, 16, 4
	;; [unrolled: 1-line block ×4, first 2 shown]
	v_lshrrev_b16_sdwa v3, v4, v3 dst_sel:DWORD dst_unused:UNUSED_PAD src0_sel:DWORD src1_sel:BYTE_3
	v_and_b32_e32 v6, 15, v6
	v_add_co_u32_e32 v3, vcc, s0, v3
	v_lshrrev_b16_e32 v5, 4, v5
	v_addc_co_u32_e32 v4, vcc, 0, v9, vcc
	v_and_b32_e32 v6, 0xffff, v6
	v_and_b32_e32 v15, 15, v5
	v_add_co_u32_e32 v5, vcc, s0, v6
	v_addc_co_u32_e32 v6, vcc, 0, v9, vcc
	v_and_b32_e32 v15, 0xffff, v15
	global_load_sbyte v16, v10, s[0:1]
	global_load_sbyte v17, v[5:6], off
	global_load_sbyte v18, v11, s[0:1]
	v_add_co_u32_e32 v5, vcc, s0, v15
	v_addc_co_u32_e32 v6, vcc, 0, v9, vcc
	global_load_sbyte v9, v[5:6], off
	global_load_sbyte v10, v12, s[0:1]
	global_load_sbyte v11, v13, s[0:1]
	;; [unrolled: 1-line block ×3, first 2 shown]
	global_load_sbyte v19, v[3:4], off
	v_lshlrev_b32_e32 v3, 6, v1
	v_lshlrev_b32_e32 v1, 1, v1
	s_waitcnt vmcnt(9)
	v_lshrrev_b32_sdwa v1, v1, v7 dst_sel:DWORD dst_unused:UNUSED_PAD src0_sel:DWORD src1_sel:WORD_1
	s_waitcnt vmcnt(8)
	v_bfe_u32 v0, v8, v0, 4
	v_lshlrev_b32_e32 v1, 4, v1
	v_and_or_b32 v0, v1, 48, v0
	v_subrev_u32_e32 v0, 32, v0
	v_cvt_f32_f16_e32 v5, v7
	v_cvt_f32_i32_e32 v6, v0
	v_mov_b32_e32 v4, s3
	v_add_co_u32_e32 v3, vcc, s2, v3
	v_addc_co_u32_e32 v4, vcc, 0, v4, vcc
	v_add_co_u32_e32 v0, vcc, v3, v2
	v_mul_f32_e32 v6, v5, v6
	v_addc_co_u32_e32 v1, vcc, 0, v4, vcc
	s_waitcnt vmcnt(7)
	v_cvt_f32_i32_e32 v2, v16
	s_waitcnt vmcnt(6)
	v_cvt_f32_i32_e32 v3, v17
	;; [unrolled: 2-line block ×8, first 2 shown]
	v_fma_mixlo_f16 v2, v6, v2, 0
	v_fma_mixlo_f16 v4, v6, v3, 0
	;; [unrolled: 1-line block ×3, first 2 shown]
	v_fma_mixhi_f16 v2, v6, v5, 0
	v_fma_mixlo_f16 v5, v6, v9, 0
	v_fma_mixhi_f16 v3, v6, v10, 0
	v_fma_mixhi_f16 v4, v6, v7, 0
	;; [unrolled: 1-line block ×3, first 2 shown]
	global_store_dwordx2 v[0:1], v[2:3], off
	global_store_dwordx2 v[0:1], v[4:5], off offset:32
	s_endpgm
	.section	.rodata,"a",@progbits
	.p2align	6, 0x0
	.amdhsa_kernel _ZL23dequantize_block_iq4_xsI6__halfEvPKvPT_
		.amdhsa_group_segment_fixed_size 0
		.amdhsa_private_segment_fixed_size 0
		.amdhsa_kernarg_size 16
		.amdhsa_user_sgpr_count 6
		.amdhsa_user_sgpr_private_segment_buffer 1
		.amdhsa_user_sgpr_dispatch_ptr 0
		.amdhsa_user_sgpr_queue_ptr 0
		.amdhsa_user_sgpr_kernarg_segment_ptr 1
		.amdhsa_user_sgpr_dispatch_id 0
		.amdhsa_user_sgpr_flat_scratch_init 0
		.amdhsa_user_sgpr_private_segment_size 0
		.amdhsa_uses_dynamic_stack 0
		.amdhsa_system_sgpr_private_segment_wavefront_offset 0
		.amdhsa_system_sgpr_workgroup_id_x 1
		.amdhsa_system_sgpr_workgroup_id_y 0
		.amdhsa_system_sgpr_workgroup_id_z 0
		.amdhsa_system_sgpr_workgroup_info 0
		.amdhsa_system_vgpr_workitem_id 0
		.amdhsa_next_free_vgpr 20
		.amdhsa_next_free_sgpr 8
		.amdhsa_reserve_vcc 1
		.amdhsa_reserve_flat_scratch 0
		.amdhsa_float_round_mode_32 0
		.amdhsa_float_round_mode_16_64 0
		.amdhsa_float_denorm_mode_32 3
		.amdhsa_float_denorm_mode_16_64 3
		.amdhsa_dx10_clamp 1
		.amdhsa_ieee_mode 1
		.amdhsa_fp16_overflow 0
		.amdhsa_exception_fp_ieee_invalid_op 0
		.amdhsa_exception_fp_denorm_src 0
		.amdhsa_exception_fp_ieee_div_zero 0
		.amdhsa_exception_fp_ieee_overflow 0
		.amdhsa_exception_fp_ieee_underflow 0
		.amdhsa_exception_fp_ieee_inexact 0
		.amdhsa_exception_int_div_zero 0
	.end_amdhsa_kernel
	.section	.text._ZL23dequantize_block_iq4_xsI6__halfEvPKvPT_,"axG",@progbits,_ZL23dequantize_block_iq4_xsI6__halfEvPKvPT_,comdat
.Lfunc_end16:
	.size	_ZL23dequantize_block_iq4_xsI6__halfEvPKvPT_, .Lfunc_end16-_ZL23dequantize_block_iq4_xsI6__halfEvPKvPT_
                                        ; -- End function
	.set _ZL23dequantize_block_iq4_xsI6__halfEvPKvPT_.num_vgpr, 20
	.set _ZL23dequantize_block_iq4_xsI6__halfEvPKvPT_.num_agpr, 0
	.set _ZL23dequantize_block_iq4_xsI6__halfEvPKvPT_.numbered_sgpr, 8
	.set _ZL23dequantize_block_iq4_xsI6__halfEvPKvPT_.num_named_barrier, 0
	.set _ZL23dequantize_block_iq4_xsI6__halfEvPKvPT_.private_seg_size, 0
	.set _ZL23dequantize_block_iq4_xsI6__halfEvPKvPT_.uses_vcc, 1
	.set _ZL23dequantize_block_iq4_xsI6__halfEvPKvPT_.uses_flat_scratch, 0
	.set _ZL23dequantize_block_iq4_xsI6__halfEvPKvPT_.has_dyn_sized_stack, 0
	.set _ZL23dequantize_block_iq4_xsI6__halfEvPKvPT_.has_recursion, 0
	.set _ZL23dequantize_block_iq4_xsI6__halfEvPKvPT_.has_indirect_call, 0
	.section	.AMDGPU.csdata,"",@progbits
; Kernel info:
; codeLenInByte = 568
; TotalNumSgprs: 12
; NumVgprs: 20
; ScratchSize: 0
; MemoryBound: 0
; FloatMode: 240
; IeeeMode: 1
; LDSByteSize: 0 bytes/workgroup (compile time only)
; SGPRBlocks: 1
; VGPRBlocks: 4
; NumSGPRsForWavesPerEU: 12
; NumVGPRsForWavesPerEU: 20
; Occupancy: 10
; WaveLimiterHint : 0
; COMPUTE_PGM_RSRC2:SCRATCH_EN: 0
; COMPUTE_PGM_RSRC2:USER_SGPR: 6
; COMPUTE_PGM_RSRC2:TRAP_HANDLER: 0
; COMPUTE_PGM_RSRC2:TGID_X_EN: 1
; COMPUTE_PGM_RSRC2:TGID_Y_EN: 0
; COMPUTE_PGM_RSRC2:TGID_Z_EN: 0
; COMPUTE_PGM_RSRC2:TIDIG_COMP_CNT: 0
	.section	.text._ZL22dequantize_block_iq3_sI6__halfEvPKvPT_,"axG",@progbits,_ZL22dequantize_block_iq3_sI6__halfEvPKvPT_,comdat
	.globl	_ZL22dequantize_block_iq3_sI6__halfEvPKvPT_ ; -- Begin function _ZL22dequantize_block_iq3_sI6__halfEvPKvPT_
	.p2align	8
	.type	_ZL22dequantize_block_iq3_sI6__halfEvPKvPT_,@function
_ZL22dequantize_block_iq3_sI6__halfEvPKvPT_: ; @_ZL22dequantize_block_iq3_sI6__halfEvPKvPT_
; %bb.0:
	s_load_dwordx4 s[0:3], s[4:5], 0x0
	s_mov_b32 s7, 0
	s_lshl_b64 s[4:5], s[6:7], 9
	v_and_b32_e32 v6, 7, v0
	v_lshlrev_b32_e32 v1, 3, v6
	s_waitcnt lgkmcnt(0)
	s_add_u32 s4, s2, s4
	s_addc_u32 s5, s3, s5
	s_mul_i32 s3, s6, 0x6e
	s_mul_hi_u32 s2, s6, 0x6e
	s_add_u32 s0, s0, s3
	s_addc_u32 s1, s1, s2
	v_mov_b32_e32 v2, s1
	v_add_co_u32_e32 v3, vcc, s0, v1
	v_addc_co_u32_e32 v4, vcc, 0, v2, vcc
	v_add_co_u32_e32 v1, vcc, s0, v6
	v_addc_co_u32_e32 v2, vcc, 0, v2, vcc
	v_lshrrev_b32_e32 v5, 3, v0
	v_mad_u64_u32 v[1:2], s[2:3], v6, 3, v[1:2]
	v_lshlrev_b32_e32 v7, 1, v5
	v_add_co_u32_e32 v3, vcc, v3, v7
	v_addc_co_u32_e32 v4, vcc, 0, v4, vcc
	v_add_co_u32_e32 v1, vcc, v1, v5
	v_bfe_u32 v8, v0, 1, 2
	v_addc_co_u32_e32 v2, vcc, 0, v2, vcc
	global_load_ushort v5, v[3:4], off offset:2
	global_load_ubyte v9, v8, s[0:1] offset:106
	global_load_sbyte v10, v[1:2], off offset:74
	global_load_ubyte v11, v6, s[0:1] offset:66
	v_mov_b32_e32 v1, 0
	global_load_ushort v1, v1, s[0:1]
	v_sub_u32_e32 v2, 8, v7
	s_movk_i32 s2, 0x100
	v_sub_u32_e32 v3, 7, v7
	s_getpc_b64 s[0:1]
	s_add_u32 s0, s0, _ZL9iq3s_grid@rel32@lo+4
	s_addc_u32 s1, s1, _ZL9iq3s_grid@rel32@hi+12
	s_waitcnt vmcnt(4)
	v_and_b32_e32 v4, 0xff, v5
	v_lshrrev_b16_e32 v5, 8, v5
	s_waitcnt vmcnt(2)
	v_and_b32_e32 v12, 8, v10
	s_waitcnt vmcnt(1)
	v_lshlrev_b32_e32 v2, v2, v11
	v_lshlrev_b32_e32 v3, v3, v11
	v_and_or_b32 v2, v2, s2, v4
	v_and_or_b32 v3, v3, s2, v5
	v_lshlrev_b32_e32 v2, 2, v2
	v_lshlrev_b32_e32 v3, 2, v3
	global_load_dword v7, v2, s[0:1]
	global_load_dword v8, v3, s[0:1]
	v_and_b32_e32 v2, 0x3f8, v0
	v_lshlrev_b32_e32 v0, 2, v0
	v_and_b32_e32 v0, 4, v0
	v_lshlrev_b32_e32 v3, 6, v6
	s_waitcnt vmcnt(2)
	v_cvt_f32_f16_e32 v1, v1
	v_lshrrev_b32_e32 v0, v0, v9
	v_mov_b32_e32 v4, s5
	v_add_co_u32_e32 v3, vcc, s4, v3
	v_lshlrev_b32_e32 v0, 1, v0
	v_lshlrev_b32_e32 v2, 1, v2
	v_addc_co_u32_e32 v5, vcc, 0, v4, vcc
	v_and_or_b32 v0, v0, 30, 1
	v_add_co_u32_e32 v4, vcc, v3, v2
	v_cvt_f32_ubyte0_e32 v0, v0
	v_addc_co_u32_e32 v5, vcc, 0, v5, vcc
	v_mul_f32_e32 v0, v1, v0
	v_and_b32_e32 v1, 1, v10
	v_and_b32_e32 v2, 16, v10
	v_cmp_eq_u16_e32 vcc, 0, v1
	v_and_b32_e32 v3, 2, v10
	v_and_b32_e32 v6, 32, v10
	;; [unrolled: 1-line block ×4, first 2 shown]
	s_waitcnt vmcnt(1)
	v_cvt_f32_ubyte0_e32 v13, v7
	s_waitcnt vmcnt(0)
	v_cvt_f32_ubyte0_e32 v14, v8
	v_mul_f32_e32 v13, v0, v13
	v_cvt_f32_ubyte1_e32 v15, v7
	v_mul_f32_e32 v14, v0, v14
	v_cndmask_b32_e64 v1, -v13, v13, vcc
	v_cmp_eq_u16_e32 vcc, 0, v2
	v_cvt_f32_ubyte1_e32 v16, v8
	v_mul_f32_e32 v15, v0, v15
	v_cndmask_b32_e64 v2, -v14, v14, vcc
	v_cmp_eq_u16_e32 vcc, 0, v3
	v_cvt_f32_ubyte2_e32 v17, v7
	v_mul_f32_e32 v16, v0, v16
	v_cndmask_b32_e64 v3, -v15, v15, vcc
	v_cmp_eq_u16_e32 vcc, 0, v6
	v_cvt_f32_ubyte2_e32 v18, v8
	v_cvt_f32_ubyte3_e32 v7, v7
	v_cvt_f32_ubyte3_e32 v8, v8
	v_mul_f32_e32 v17, v0, v17
	v_cndmask_b32_e64 v6, -v16, v16, vcc
	v_cmp_eq_u16_e32 vcc, 0, v9
	v_mul_f32_e32 v18, v0, v18
	v_mul_f32_e32 v7, v0, v7
	;; [unrolled: 1-line block ×3, first 2 shown]
	v_cndmask_b32_e64 v8, -v17, v17, vcc
	v_cmp_eq_u16_e32 vcc, 0, v11
	v_cndmask_b32_e64 v9, -v18, v18, vcc
	v_cmp_eq_u16_e32 vcc, 0, v12
	v_cndmask_b32_e64 v7, -v7, v7, vcc
	v_cmp_gt_i16_e32 vcc, 0, v10
	v_cndmask_b32_e64 v0, v0, -v0, vcc
	v_cvt_f16_f32_e32 v10, v1
	v_cvt_f16_f32_e32 v1, v2
	;; [unrolled: 1-line block ×8, first 2 shown]
	v_pack_b32_f16 v3, v6, v0
	v_pack_b32_f16 v2, v1, v2
	;; [unrolled: 1-line block ×4, first 2 shown]
	global_store_dwordx4 v[4:5], v[0:3], off
	s_endpgm
	.section	.rodata,"a",@progbits
	.p2align	6, 0x0
	.amdhsa_kernel _ZL22dequantize_block_iq3_sI6__halfEvPKvPT_
		.amdhsa_group_segment_fixed_size 0
		.amdhsa_private_segment_fixed_size 0
		.amdhsa_kernarg_size 16
		.amdhsa_user_sgpr_count 6
		.amdhsa_user_sgpr_private_segment_buffer 1
		.amdhsa_user_sgpr_dispatch_ptr 0
		.amdhsa_user_sgpr_queue_ptr 0
		.amdhsa_user_sgpr_kernarg_segment_ptr 1
		.amdhsa_user_sgpr_dispatch_id 0
		.amdhsa_user_sgpr_flat_scratch_init 0
		.amdhsa_user_sgpr_private_segment_size 0
		.amdhsa_uses_dynamic_stack 0
		.amdhsa_system_sgpr_private_segment_wavefront_offset 0
		.amdhsa_system_sgpr_workgroup_id_x 1
		.amdhsa_system_sgpr_workgroup_id_y 0
		.amdhsa_system_sgpr_workgroup_id_z 0
		.amdhsa_system_sgpr_workgroup_info 0
		.amdhsa_system_vgpr_workitem_id 0
		.amdhsa_next_free_vgpr 19
		.amdhsa_next_free_sgpr 8
		.amdhsa_reserve_vcc 1
		.amdhsa_reserve_flat_scratch 0
		.amdhsa_float_round_mode_32 0
		.amdhsa_float_round_mode_16_64 0
		.amdhsa_float_denorm_mode_32 3
		.amdhsa_float_denorm_mode_16_64 3
		.amdhsa_dx10_clamp 1
		.amdhsa_ieee_mode 1
		.amdhsa_fp16_overflow 0
		.amdhsa_exception_fp_ieee_invalid_op 0
		.amdhsa_exception_fp_denorm_src 0
		.amdhsa_exception_fp_ieee_div_zero 0
		.amdhsa_exception_fp_ieee_overflow 0
		.amdhsa_exception_fp_ieee_underflow 0
		.amdhsa_exception_fp_ieee_inexact 0
		.amdhsa_exception_int_div_zero 0
	.end_amdhsa_kernel
	.section	.text._ZL22dequantize_block_iq3_sI6__halfEvPKvPT_,"axG",@progbits,_ZL22dequantize_block_iq3_sI6__halfEvPKvPT_,comdat
.Lfunc_end17:
	.size	_ZL22dequantize_block_iq3_sI6__halfEvPKvPT_, .Lfunc_end17-_ZL22dequantize_block_iq3_sI6__halfEvPKvPT_
                                        ; -- End function
	.set _ZL22dequantize_block_iq3_sI6__halfEvPKvPT_.num_vgpr, 19
	.set _ZL22dequantize_block_iq3_sI6__halfEvPKvPT_.num_agpr, 0
	.set _ZL22dequantize_block_iq3_sI6__halfEvPKvPT_.numbered_sgpr, 8
	.set _ZL22dequantize_block_iq3_sI6__halfEvPKvPT_.num_named_barrier, 0
	.set _ZL22dequantize_block_iq3_sI6__halfEvPKvPT_.private_seg_size, 0
	.set _ZL22dequantize_block_iq3_sI6__halfEvPKvPT_.uses_vcc, 1
	.set _ZL22dequantize_block_iq3_sI6__halfEvPKvPT_.uses_flat_scratch, 0
	.set _ZL22dequantize_block_iq3_sI6__halfEvPKvPT_.has_dyn_sized_stack, 0
	.set _ZL22dequantize_block_iq3_sI6__halfEvPKvPT_.has_recursion, 0
	.set _ZL22dequantize_block_iq3_sI6__halfEvPKvPT_.has_indirect_call, 0
	.section	.AMDGPU.csdata,"",@progbits
; Kernel info:
; codeLenInByte = 616
; TotalNumSgprs: 12
; NumVgprs: 19
; ScratchSize: 0
; MemoryBound: 0
; FloatMode: 240
; IeeeMode: 1
; LDSByteSize: 0 bytes/workgroup (compile time only)
; SGPRBlocks: 1
; VGPRBlocks: 4
; NumSGPRsForWavesPerEU: 12
; NumVGPRsForWavesPerEU: 19
; Occupancy: 10
; WaveLimiterHint : 0
; COMPUTE_PGM_RSRC2:SCRATCH_EN: 0
; COMPUTE_PGM_RSRC2:USER_SGPR: 6
; COMPUTE_PGM_RSRC2:TRAP_HANDLER: 0
; COMPUTE_PGM_RSRC2:TGID_X_EN: 1
; COMPUTE_PGM_RSRC2:TGID_Y_EN: 0
; COMPUTE_PGM_RSRC2:TGID_Z_EN: 0
; COMPUTE_PGM_RSRC2:TIDIG_COMP_CNT: 0
	.section	.text._ZL22dequantize_block_mxfp4I6__halfEvPKvPT_,"axG",@progbits,_ZL22dequantize_block_mxfp4I6__halfEvPKvPT_,comdat
	.globl	_ZL22dequantize_block_mxfp4I6__halfEvPKvPT_ ; -- Begin function _ZL22dequantize_block_mxfp4I6__halfEvPKvPT_
	.p2align	8
	.type	_ZL22dequantize_block_mxfp4I6__halfEvPKvPT_,@function
_ZL22dequantize_block_mxfp4I6__halfEvPKvPT_: ; @_ZL22dequantize_block_mxfp4I6__halfEvPKvPT_
; %bb.0:
	s_load_dwordx4 s[0:3], s[4:5], 0x0
	s_mul_i32 s5, s6, 0x88
	s_mul_hi_u32 s4, s6, 0x88
	v_and_b32_e32 v1, 7, v0
	v_lshrrev_b32_e32 v0, 1, v0
	s_waitcnt lgkmcnt(0)
	s_add_u32 s0, s0, s5
	s_addc_u32 s1, s1, s4
	v_mad_u64_u32 v[2:3], s[0:1], v1, 17, s[0:1]
	v_and_b32_e32 v0, 0x1fc, v0
	s_mov_b32 s7, 0
	v_add_co_u32_e32 v4, vcc, v2, v0
	v_addc_co_u32_e32 v5, vcc, 0, v3, vcc
	global_load_dword v6, v[4:5], off offset:1
	global_load_ubyte v7, v[2:3], off
	s_lshl_b64 s[0:1], s[6:7], 9
	s_add_u32 s2, s2, s0
	v_mov_b32_e32 v2, 4
	s_addc_u32 s3, s3, s1
	s_getpc_b64 s[0:1]
	s_add_u32 s0, s0, _ZL13kvalues_mxfp4@rel32@lo+4
	s_addc_u32 s1, s1, _ZL13kvalues_mxfp4@rel32@hi+12
	v_mov_b32_e32 v8, s1
	v_lshlrev_b32_e32 v1, 6, v1
	v_lshlrev_b32_e32 v0, 1, v0
	s_waitcnt vmcnt(1)
	v_lshrrev_b16_e32 v4, 4, v6
	v_lshrrev_b16_sdwa v2, v2, v6 dst_sel:DWORD dst_unused:UNUSED_PAD src0_sel:DWORD src1_sel:BYTE_3
	v_lshrrev_b32_e32 v3, 8, v6
	v_and_b32_e32 v4, 15, v4
	v_add_co_u32_e32 v2, vcc, s0, v2
	v_lshrrev_b16_e32 v5, 4, v3
	v_addc_co_u32_e32 v3, vcc, 0, v8, vcc
	v_and_b32_e32 v4, 0xffff, v4
	v_and_b32_e32 v9, 15, v6
	v_bfe_u32 v10, v6, 8, 4
	v_bfe_u32 v11, v6, 16, 4
	;; [unrolled: 1-line block ×4, first 2 shown]
	v_and_b32_e32 v6, 15, v5
	v_add_co_u32_e32 v4, vcc, s0, v4
	v_addc_co_u32_e32 v5, vcc, 0, v8, vcc
	v_and_b32_e32 v6, 0xffff, v6
	global_load_sbyte v14, v9, s[0:1]
	global_load_sbyte v15, v[4:5], off
	global_load_sbyte v16, v10, s[0:1]
	v_add_co_u32_e32 v4, vcc, s0, v6
	v_addc_co_u32_e32 v5, vcc, 0, v8, vcc
	global_load_sbyte v6, v[4:5], off
	global_load_sbyte v8, v11, s[0:1]
	global_load_sbyte v9, v12, s[0:1]
	;; [unrolled: 1-line block ×3, first 2 shown]
	global_load_sbyte v17, v[2:3], off
	v_mov_b32_e32 v3, s3
	v_add_co_u32_e32 v1, vcc, s2, v1
	v_addc_co_u32_e32 v3, vcc, 0, v3, vcc
	v_add_co_u32_e32 v0, vcc, v1, v0
	v_addc_co_u32_e32 v1, vcc, 0, v3, vcc
	s_waitcnt vmcnt(8)
	v_lshlrev_b32_e32 v3, 23, v7
	v_cmp_ne_u32_e32 vcc, 0, v7
	v_mov_b32_e32 v2, 0x400000
	v_cndmask_b32_e32 v3, v2, v3, vcc
	s_mov_b32 s0, 0.5
	s_waitcnt vmcnt(7)
	v_cvt_f32_i32_e32 v4, v14
	s_waitcnt vmcnt(6)
	v_cvt_f32_i32_e32 v5, v15
	;; [unrolled: 2-line block ×8, first 2 shown]
	v_mul_f32_e32 v2, v3, v4
	v_mul_f32_e32 v4, v3, v5
	;; [unrolled: 1-line block ×4, first 2 shown]
	v_fma_mixlo_f16 v2, v2, s0, 0
	v_mul_f32_e32 v6, v3, v6
	v_mul_f32_e32 v8, v3, v9
	;; [unrolled: 1-line block ×4, first 2 shown]
	v_fma_mixlo_f16 v3, v7, s0, 0
	v_fma_mixlo_f16 v4, v4, s0, 0
	v_fma_mixhi_f16 v2, v5, s0, 0
	v_fma_mixlo_f16 v5, v8, s0, 0
	v_fma_mixhi_f16 v3, v9, s0, 0
	v_fma_mixhi_f16 v4, v6, s0, 0
	v_fma_mixhi_f16 v5, v10, s0, 0
	global_store_dwordx2 v[0:1], v[2:3], off
	global_store_dwordx2 v[0:1], v[4:5], off offset:32
	s_endpgm
	.section	.rodata,"a",@progbits
	.p2align	6, 0x0
	.amdhsa_kernel _ZL22dequantize_block_mxfp4I6__halfEvPKvPT_
		.amdhsa_group_segment_fixed_size 0
		.amdhsa_private_segment_fixed_size 0
		.amdhsa_kernarg_size 16
		.amdhsa_user_sgpr_count 6
		.amdhsa_user_sgpr_private_segment_buffer 1
		.amdhsa_user_sgpr_dispatch_ptr 0
		.amdhsa_user_sgpr_queue_ptr 0
		.amdhsa_user_sgpr_kernarg_segment_ptr 1
		.amdhsa_user_sgpr_dispatch_id 0
		.amdhsa_user_sgpr_flat_scratch_init 0
		.amdhsa_user_sgpr_private_segment_size 0
		.amdhsa_uses_dynamic_stack 0
		.amdhsa_system_sgpr_private_segment_wavefront_offset 0
		.amdhsa_system_sgpr_workgroup_id_x 1
		.amdhsa_system_sgpr_workgroup_id_y 0
		.amdhsa_system_sgpr_workgroup_id_z 0
		.amdhsa_system_sgpr_workgroup_info 0
		.amdhsa_system_vgpr_workitem_id 0
		.amdhsa_next_free_vgpr 18
		.amdhsa_next_free_sgpr 8
		.amdhsa_reserve_vcc 1
		.amdhsa_reserve_flat_scratch 0
		.amdhsa_float_round_mode_32 0
		.amdhsa_float_round_mode_16_64 0
		.amdhsa_float_denorm_mode_32 3
		.amdhsa_float_denorm_mode_16_64 3
		.amdhsa_dx10_clamp 1
		.amdhsa_ieee_mode 1
		.amdhsa_fp16_overflow 0
		.amdhsa_exception_fp_ieee_invalid_op 0
		.amdhsa_exception_fp_denorm_src 0
		.amdhsa_exception_fp_ieee_div_zero 0
		.amdhsa_exception_fp_ieee_overflow 0
		.amdhsa_exception_fp_ieee_underflow 0
		.amdhsa_exception_fp_ieee_inexact 0
		.amdhsa_exception_int_div_zero 0
	.end_amdhsa_kernel
	.section	.text._ZL22dequantize_block_mxfp4I6__halfEvPKvPT_,"axG",@progbits,_ZL22dequantize_block_mxfp4I6__halfEvPKvPT_,comdat
.Lfunc_end18:
	.size	_ZL22dequantize_block_mxfp4I6__halfEvPKvPT_, .Lfunc_end18-_ZL22dequantize_block_mxfp4I6__halfEvPKvPT_
                                        ; -- End function
	.set _ZL22dequantize_block_mxfp4I6__halfEvPKvPT_.num_vgpr, 18
	.set _ZL22dequantize_block_mxfp4I6__halfEvPKvPT_.num_agpr, 0
	.set _ZL22dequantize_block_mxfp4I6__halfEvPKvPT_.numbered_sgpr, 8
	.set _ZL22dequantize_block_mxfp4I6__halfEvPKvPT_.num_named_barrier, 0
	.set _ZL22dequantize_block_mxfp4I6__halfEvPKvPT_.private_seg_size, 0
	.set _ZL22dequantize_block_mxfp4I6__halfEvPKvPT_.uses_vcc, 1
	.set _ZL22dequantize_block_mxfp4I6__halfEvPKvPT_.uses_flat_scratch, 0
	.set _ZL22dequantize_block_mxfp4I6__halfEvPKvPT_.has_dyn_sized_stack, 0
	.set _ZL22dequantize_block_mxfp4I6__halfEvPKvPT_.has_recursion, 0
	.set _ZL22dequantize_block_mxfp4I6__halfEvPKvPT_.has_indirect_call, 0
	.section	.AMDGPU.csdata,"",@progbits
; Kernel info:
; codeLenInByte = 536
; TotalNumSgprs: 12
; NumVgprs: 18
; ScratchSize: 0
; MemoryBound: 0
; FloatMode: 240
; IeeeMode: 1
; LDSByteSize: 0 bytes/workgroup (compile time only)
; SGPRBlocks: 1
; VGPRBlocks: 4
; NumSGPRsForWavesPerEU: 12
; NumVGPRsForWavesPerEU: 18
; Occupancy: 10
; WaveLimiterHint : 0
; COMPUTE_PGM_RSRC2:SCRATCH_EN: 0
; COMPUTE_PGM_RSRC2:USER_SGPR: 6
; COMPUTE_PGM_RSRC2:TRAP_HANDLER: 0
; COMPUTE_PGM_RSRC2:TGID_X_EN: 1
; COMPUTE_PGM_RSRC2:TGID_Y_EN: 0
; COMPUTE_PGM_RSRC2:TGID_Z_EN: 0
; COMPUTE_PGM_RSRC2:TIDIG_COMP_CNT: 0
	.section	.text._ZL22dequantize_block_nvfp4I6__halfEvPKvPT_l,"axG",@progbits,_ZL22dequantize_block_nvfp4I6__halfEvPKvPT_l,comdat
	.globl	_ZL22dequantize_block_nvfp4I6__halfEvPKvPT_l ; -- Begin function _ZL22dequantize_block_nvfp4I6__halfEvPKvPT_l
	.p2align	8
	.type	_ZL22dequantize_block_nvfp4I6__halfEvPKvPT_l,@function
_ZL22dequantize_block_nvfp4I6__halfEvPKvPT_l: ; @_ZL22dequantize_block_nvfp4I6__halfEvPKvPT_l
; %bb.0:
	s_load_dwordx2 s[2:3], s[4:5], 0x10
	s_mov_b32 s7, 0
	s_lshl_b64 s[0:1], s[6:7], 6
	s_waitcnt lgkmcnt(0)
	v_mov_b32_e32 v1, s2
	v_mov_b32_e32 v2, s3
	v_cmp_ge_i64_e32 vcc, s[0:1], v[1:2]
	s_cbranch_vccnz .LBB19_6
; %bb.1:
	s_load_dwordx2 s[2:3], s[4:5], 0x0
	s_mul_hi_u32 s7, s6, 36
	s_mul_i32 s6, s6, 36
	v_lshrrev_b32_e32 v1, 3, v0
	s_mov_b64 s[8:9], 0
	s_waitcnt lgkmcnt(0)
	s_add_u32 s6, s2, s6
	s_addc_u32 s7, s3, s7
	global_load_ubyte v3, v1, s[6:7]
	s_movk_i32 s2, 0x7e
	s_waitcnt vmcnt(0)
	v_cmp_lt_i16_e32 vcc, s2, v3
	s_and_saveexec_b64 s[2:3], vcc
	s_xor_b64 s[2:3], exec, s[2:3]
	s_cbranch_execnz .LBB19_7
; %bb.2:
	s_or_saveexec_b64 s[10:11], s[2:3]
	s_load_dwordx2 s[2:3], s[4:5], 0x8
	s_xor_b64 exec, exec, s[10:11]
	s_cbranch_execnz .LBB19_8
.LBB19_3:
	s_or_b64 exec, exec, s[10:11]
	v_mov_b32_e32 v2, 0
	s_and_saveexec_b64 s[4:5], s[8:9]
	s_cbranch_execz .LBB19_5
.LBB19_4:
	v_and_b32_e32 v2, 0xffff, v3
	v_bfe_u32 v3, v2, 3, 4
	v_and_b32_e32 v2, 7, v2
	v_cvt_f32_ubyte0_e32 v2, v2
	s_mov_b32 s8, 0x3e000000
	v_fma_f32 v4, v2, s8, 1.0
	v_add_u32_e32 v5, -7, v3
	v_cmp_eq_u32_e32 vcc, 0, v3
	v_cndmask_b32_e32 v2, v4, v2, vcc
	v_cndmask_b32_e64 v3, v5, -9, vcc
	v_ldexp_f32 v2, v2, v3
	v_mul_f32_e32 v2, 0.5, v2
.LBB19_5:
	s_or_b64 exec, exec, s[4:5]
	global_load_ubyte v3, v0, s[6:7] offset:4
	s_getpc_b64 s[4:5]
	s_add_u32 s4, s4, _ZL13kvalues_mxfp4@rel32@lo+4
	s_addc_u32 s5, s5, _ZL13kvalues_mxfp4@rel32@hi+12
	s_lshl_b64 s[0:1], s[0:1], 1
	s_waitcnt lgkmcnt(0)
	s_add_u32 s0, s2, s0
	v_lshlrev_b32_e32 v1, 5, v1
	s_addc_u32 s1, s3, s1
	v_and_b32_e32 v0, 7, v0
	v_add_co_u32_e32 v1, vcc, s0, v1
	v_lshlrev_b32_e32 v0, 1, v0
	s_waitcnt vmcnt(0)
	v_and_b32_e32 v4, 15, v3
	v_lshrrev_b32_e32 v3, 4, v3
	global_load_sbyte v5, v4, s[4:5]
	global_load_sbyte v6, v3, s[4:5]
	v_mov_b32_e32 v3, s1
	v_addc_co_u32_e32 v3, vcc, 0, v3, vcc
	v_add_co_u32_e32 v0, vcc, v1, v0
	v_addc_co_u32_e32 v1, vcc, 0, v3, vcc
	s_waitcnt vmcnt(1)
	v_cvt_f32_i32_e32 v4, v5
	s_waitcnt vmcnt(0)
	v_cvt_f32_i32_e32 v5, v6
	v_fma_mixlo_f16 v3, v2, v4, 0
	v_fma_mixlo_f16 v2, v2, v5, 0
	global_store_short v[0:1], v3, off
	global_store_short v[0:1], v2, off offset:16
.LBB19_6:
	s_endpgm
.LBB19_7:
	s_movk_i32 s8, 0x7f
	v_cmp_ne_u16_e32 vcc, s8, v3
	s_and_b64 s[8:9], vcc, exec
	s_or_saveexec_b64 s[10:11], s[2:3]
	s_load_dwordx2 s[2:3], s[4:5], 0x8
	s_xor_b64 exec, exec, s[10:11]
	s_cbranch_execz .LBB19_3
.LBB19_8:
	v_cmp_ne_u16_e32 vcc, 0, v3
	s_andn2_b64 s[4:5], s[8:9], exec
	s_and_b64 s[8:9], vcc, exec
	s_or_b64 s[8:9], s[4:5], s[8:9]
	s_or_b64 exec, exec, s[10:11]
	v_mov_b32_e32 v2, 0
	s_and_saveexec_b64 s[4:5], s[8:9]
	s_cbranch_execnz .LBB19_4
	s_branch .LBB19_5
	.section	.rodata,"a",@progbits
	.p2align	6, 0x0
	.amdhsa_kernel _ZL22dequantize_block_nvfp4I6__halfEvPKvPT_l
		.amdhsa_group_segment_fixed_size 0
		.amdhsa_private_segment_fixed_size 0
		.amdhsa_kernarg_size 24
		.amdhsa_user_sgpr_count 6
		.amdhsa_user_sgpr_private_segment_buffer 1
		.amdhsa_user_sgpr_dispatch_ptr 0
		.amdhsa_user_sgpr_queue_ptr 0
		.amdhsa_user_sgpr_kernarg_segment_ptr 1
		.amdhsa_user_sgpr_dispatch_id 0
		.amdhsa_user_sgpr_flat_scratch_init 0
		.amdhsa_user_sgpr_private_segment_size 0
		.amdhsa_uses_dynamic_stack 0
		.amdhsa_system_sgpr_private_segment_wavefront_offset 0
		.amdhsa_system_sgpr_workgroup_id_x 1
		.amdhsa_system_sgpr_workgroup_id_y 0
		.amdhsa_system_sgpr_workgroup_id_z 0
		.amdhsa_system_sgpr_workgroup_info 0
		.amdhsa_system_vgpr_workitem_id 0
		.amdhsa_next_free_vgpr 7
		.amdhsa_next_free_sgpr 12
		.amdhsa_reserve_vcc 1
		.amdhsa_reserve_flat_scratch 0
		.amdhsa_float_round_mode_32 0
		.amdhsa_float_round_mode_16_64 0
		.amdhsa_float_denorm_mode_32 3
		.amdhsa_float_denorm_mode_16_64 3
		.amdhsa_dx10_clamp 1
		.amdhsa_ieee_mode 1
		.amdhsa_fp16_overflow 0
		.amdhsa_exception_fp_ieee_invalid_op 0
		.amdhsa_exception_fp_denorm_src 0
		.amdhsa_exception_fp_ieee_div_zero 0
		.amdhsa_exception_fp_ieee_overflow 0
		.amdhsa_exception_fp_ieee_underflow 0
		.amdhsa_exception_fp_ieee_inexact 0
		.amdhsa_exception_int_div_zero 0
	.end_amdhsa_kernel
	.section	.text._ZL22dequantize_block_nvfp4I6__halfEvPKvPT_l,"axG",@progbits,_ZL22dequantize_block_nvfp4I6__halfEvPKvPT_l,comdat
.Lfunc_end19:
	.size	_ZL22dequantize_block_nvfp4I6__halfEvPKvPT_l, .Lfunc_end19-_ZL22dequantize_block_nvfp4I6__halfEvPKvPT_l
                                        ; -- End function
	.set _ZL22dequantize_block_nvfp4I6__halfEvPKvPT_l.num_vgpr, 7
	.set _ZL22dequantize_block_nvfp4I6__halfEvPKvPT_l.num_agpr, 0
	.set _ZL22dequantize_block_nvfp4I6__halfEvPKvPT_l.numbered_sgpr, 12
	.set _ZL22dequantize_block_nvfp4I6__halfEvPKvPT_l.num_named_barrier, 0
	.set _ZL22dequantize_block_nvfp4I6__halfEvPKvPT_l.private_seg_size, 0
	.set _ZL22dequantize_block_nvfp4I6__halfEvPKvPT_l.uses_vcc, 1
	.set _ZL22dequantize_block_nvfp4I6__halfEvPKvPT_l.uses_flat_scratch, 0
	.set _ZL22dequantize_block_nvfp4I6__halfEvPKvPT_l.has_dyn_sized_stack, 0
	.set _ZL22dequantize_block_nvfp4I6__halfEvPKvPT_l.has_recursion, 0
	.set _ZL22dequantize_block_nvfp4I6__halfEvPKvPT_l.has_indirect_call, 0
	.section	.AMDGPU.csdata,"",@progbits
; Kernel info:
; codeLenInByte = 440
; TotalNumSgprs: 16
; NumVgprs: 7
; ScratchSize: 0
; MemoryBound: 0
; FloatMode: 240
; IeeeMode: 1
; LDSByteSize: 0 bytes/workgroup (compile time only)
; SGPRBlocks: 1
; VGPRBlocks: 1
; NumSGPRsForWavesPerEU: 16
; NumVGPRsForWavesPerEU: 7
; Occupancy: 10
; WaveLimiterHint : 0
; COMPUTE_PGM_RSRC2:SCRATCH_EN: 0
; COMPUTE_PGM_RSRC2:USER_SGPR: 6
; COMPUTE_PGM_RSRC2:TRAP_HANDLER: 0
; COMPUTE_PGM_RSRC2:TGID_X_EN: 1
; COMPUTE_PGM_RSRC2:TGID_Y_EN: 0
; COMPUTE_PGM_RSRC2:TGID_Z_EN: 0
; COMPUTE_PGM_RSRC2:TIDIG_COMP_CNT: 0
	.section	.text._ZL21dequantize_block_q4_0IfEvPKvPT_i,"axG",@progbits,_ZL21dequantize_block_q4_0IfEvPKvPT_i,comdat
	.globl	_ZL21dequantize_block_q4_0IfEvPKvPT_i ; -- Begin function _ZL21dequantize_block_q4_0IfEvPKvPT_i
	.p2align	8
	.type	_ZL21dequantize_block_q4_0IfEvPKvPT_i,@function
_ZL21dequantize_block_q4_0IfEvPKvPT_i:  ; @_ZL21dequantize_block_q4_0IfEvPKvPT_i
; %bb.0:
	s_load_dword s0, s[4:5], 0x10
	s_mov_b32 s7, 0
	v_and_b32_e32 v3, 7, v0
	s_lshl_b64 s[2:3], s[6:7], 3
	v_mov_b32_e32 v2, s3
	s_waitcnt lgkmcnt(0)
	s_ashr_i32 s1, s0, 31
	v_or_b32_e32 v1, s2, v3
	v_cmp_gt_i64_e32 vcc, s[0:1], v[1:2]
	s_and_saveexec_b64 s[0:1], vcc
	s_cbranch_execz .LBB20_2
; %bb.1:
	s_load_dwordx4 s[0:3], s[4:5], 0x0
	v_lshrrev_b32_e32 v0, 1, v0
	v_and_b32_e32 v6, 0x1fc, v0
	s_waitcnt lgkmcnt(0)
	v_mad_u64_u32 v[4:5], s[0:1], v1, 18, s[0:1]
	s_lshl_b64 s[0:1], s[6:7], 10
	s_add_u32 s0, s2, s0
	v_mad_u32_u24 v5, v2, 18, v5
	v_add_co_u32_e32 v0, vcc, v4, v6
	v_addc_co_u32_e32 v1, vcc, 0, v5, vcc
	global_load_ushort v7, v[4:5], off
	global_load_dword v2, v[0:1], off offset:2
	v_lshlrev_b32_e32 v0, 7, v3
	s_addc_u32 s1, s3, s1
	v_mov_b32_e32 v4, s1
	v_add_co_u32_e32 v0, vcc, s0, v0
	v_lshlrev_b32_e32 v3, 2, v6
	v_addc_co_u32_e32 v4, vcc, 0, v4, vcc
	v_add_co_u32_e32 v8, vcc, v0, v3
	v_mov_b32_e32 v1, 4
	v_addc_co_u32_e32 v9, vcc, 0, v4, vcc
	s_waitcnt vmcnt(1)
	v_cvt_f32_f16_e32 v0, v7
	s_waitcnt vmcnt(0)
	v_lshrrev_b32_e32 v3, 8, v2
	v_and_b32_e32 v4, 15, v2
	v_lshrrev_b16_e32 v5, 4, v2
	v_lshrrev_b16_e32 v3, 4, v3
	v_bfe_u32 v6, v2, 8, 4
	v_bfe_u32 v10, v2, 16, 4
	;; [unrolled: 1-line block ×4, first 2 shown]
	v_lshrrev_b16_sdwa v1, v1, v2 dst_sel:DWORD dst_unused:UNUSED_PAD src0_sel:DWORD src1_sel:BYTE_3
	v_cvt_f32_ubyte0_e32 v2, v4
	v_and_b32_e32 v4, 15, v5
	v_and_b32_e32 v3, 15, v3
	v_cvt_f32_ubyte0_e32 v5, v6
	v_cvt_f32_ubyte0_e32 v6, v10
	;; [unrolled: 1-line block ×6, first 2 shown]
	v_mul_f32_e32 v13, 0xc1000000, v0
	v_cvt_f32_ubyte0_e32 v3, v3
	v_fma_mix_f32 v0, v7, v2, v13 op_sel_hi:[1,0,0]
	v_fma_mix_f32 v4, v7, v1, v13 op_sel_hi:[1,0,0]
	;; [unrolled: 1-line block ×8, first 2 shown]
	global_store_dwordx4 v[8:9], v[0:3], off
	global_store_dwordx4 v[8:9], v[4:7], off offset:64
.LBB20_2:
	s_endpgm
	.section	.rodata,"a",@progbits
	.p2align	6, 0x0
	.amdhsa_kernel _ZL21dequantize_block_q4_0IfEvPKvPT_i
		.amdhsa_group_segment_fixed_size 0
		.amdhsa_private_segment_fixed_size 0
		.amdhsa_kernarg_size 20
		.amdhsa_user_sgpr_count 6
		.amdhsa_user_sgpr_private_segment_buffer 1
		.amdhsa_user_sgpr_dispatch_ptr 0
		.amdhsa_user_sgpr_queue_ptr 0
		.amdhsa_user_sgpr_kernarg_segment_ptr 1
		.amdhsa_user_sgpr_dispatch_id 0
		.amdhsa_user_sgpr_flat_scratch_init 0
		.amdhsa_user_sgpr_private_segment_size 0
		.amdhsa_uses_dynamic_stack 0
		.amdhsa_system_sgpr_private_segment_wavefront_offset 0
		.amdhsa_system_sgpr_workgroup_id_x 1
		.amdhsa_system_sgpr_workgroup_id_y 0
		.amdhsa_system_sgpr_workgroup_id_z 0
		.amdhsa_system_sgpr_workgroup_info 0
		.amdhsa_system_vgpr_workitem_id 0
		.amdhsa_next_free_vgpr 14
		.amdhsa_next_free_sgpr 8
		.amdhsa_reserve_vcc 1
		.amdhsa_reserve_flat_scratch 0
		.amdhsa_float_round_mode_32 0
		.amdhsa_float_round_mode_16_64 0
		.amdhsa_float_denorm_mode_32 3
		.amdhsa_float_denorm_mode_16_64 3
		.amdhsa_dx10_clamp 1
		.amdhsa_ieee_mode 1
		.amdhsa_fp16_overflow 0
		.amdhsa_exception_fp_ieee_invalid_op 0
		.amdhsa_exception_fp_denorm_src 0
		.amdhsa_exception_fp_ieee_div_zero 0
		.amdhsa_exception_fp_ieee_overflow 0
		.amdhsa_exception_fp_ieee_underflow 0
		.amdhsa_exception_fp_ieee_inexact 0
		.amdhsa_exception_int_div_zero 0
	.end_amdhsa_kernel
	.section	.text._ZL21dequantize_block_q4_0IfEvPKvPT_i,"axG",@progbits,_ZL21dequantize_block_q4_0IfEvPKvPT_i,comdat
.Lfunc_end20:
	.size	_ZL21dequantize_block_q4_0IfEvPKvPT_i, .Lfunc_end20-_ZL21dequantize_block_q4_0IfEvPKvPT_i
                                        ; -- End function
	.set _ZL21dequantize_block_q4_0IfEvPKvPT_i.num_vgpr, 14
	.set _ZL21dequantize_block_q4_0IfEvPKvPT_i.num_agpr, 0
	.set _ZL21dequantize_block_q4_0IfEvPKvPT_i.numbered_sgpr, 8
	.set _ZL21dequantize_block_q4_0IfEvPKvPT_i.num_named_barrier, 0
	.set _ZL21dequantize_block_q4_0IfEvPKvPT_i.private_seg_size, 0
	.set _ZL21dequantize_block_q4_0IfEvPKvPT_i.uses_vcc, 1
	.set _ZL21dequantize_block_q4_0IfEvPKvPT_i.uses_flat_scratch, 0
	.set _ZL21dequantize_block_q4_0IfEvPKvPT_i.has_dyn_sized_stack, 0
	.set _ZL21dequantize_block_q4_0IfEvPKvPT_i.has_recursion, 0
	.set _ZL21dequantize_block_q4_0IfEvPKvPT_i.has_indirect_call, 0
	.section	.AMDGPU.csdata,"",@progbits
; Kernel info:
; codeLenInByte = 356
; TotalNumSgprs: 12
; NumVgprs: 14
; ScratchSize: 0
; MemoryBound: 0
; FloatMode: 240
; IeeeMode: 1
; LDSByteSize: 0 bytes/workgroup (compile time only)
; SGPRBlocks: 1
; VGPRBlocks: 3
; NumSGPRsForWavesPerEU: 12
; NumVGPRsForWavesPerEU: 14
; Occupancy: 10
; WaveLimiterHint : 0
; COMPUTE_PGM_RSRC2:SCRATCH_EN: 0
; COMPUTE_PGM_RSRC2:USER_SGPR: 6
; COMPUTE_PGM_RSRC2:TRAP_HANDLER: 0
; COMPUTE_PGM_RSRC2:TGID_X_EN: 1
; COMPUTE_PGM_RSRC2:TGID_Y_EN: 0
; COMPUTE_PGM_RSRC2:TGID_Z_EN: 0
; COMPUTE_PGM_RSRC2:TIDIG_COMP_CNT: 0
	.section	.text._ZL21dequantize_block_q4_1IfEvPKvPT_i,"axG",@progbits,_ZL21dequantize_block_q4_1IfEvPKvPT_i,comdat
	.globl	_ZL21dequantize_block_q4_1IfEvPKvPT_i ; -- Begin function _ZL21dequantize_block_q4_1IfEvPKvPT_i
	.p2align	8
	.type	_ZL21dequantize_block_q4_1IfEvPKvPT_i,@function
_ZL21dequantize_block_q4_1IfEvPKvPT_i:  ; @_ZL21dequantize_block_q4_1IfEvPKvPT_i
; %bb.0:
	s_load_dword s0, s[4:5], 0x10
	s_mov_b32 s7, 0
	v_and_b32_e32 v3, 7, v0
	s_lshl_b64 s[2:3], s[6:7], 3
	v_mov_b32_e32 v2, s3
	s_waitcnt lgkmcnt(0)
	s_ashr_i32 s1, s0, 31
	v_or_b32_e32 v1, s2, v3
	v_cmp_gt_i64_e32 vcc, s[0:1], v[1:2]
	s_and_saveexec_b64 s[0:1], vcc
	s_cbranch_execz .LBB21_2
; %bb.1:
	s_load_dwordx4 s[0:3], s[4:5], 0x0
	v_lshrrev_b32_e32 v0, 1, v0
	v_and_b32_e32 v6, 0x1fc, v0
	s_waitcnt lgkmcnt(0)
	v_mad_u64_u32 v[4:5], s[0:1], v1, 20, s[0:1]
	s_lshl_b64 s[0:1], s[6:7], 10
	s_add_u32 s0, s2, s0
	v_mad_u32_u24 v5, v2, 20, v5
	v_add_co_u32_e32 v0, vcc, v4, v6
	v_addc_co_u32_e32 v1, vcc, 0, v5, vcc
	global_load_dword v2, v[0:1], off offset:4
	global_load_dword v7, v[4:5], off
	v_lshlrev_b32_e32 v0, 7, v3
	s_addc_u32 s1, s3, s1
	v_mov_b32_e32 v4, s1
	v_add_co_u32_e32 v0, vcc, s0, v0
	v_lshlrev_b32_e32 v3, 2, v6
	v_addc_co_u32_e32 v4, vcc, 0, v4, vcc
	v_add_co_u32_e32 v8, vcc, v0, v3
	v_mov_b32_e32 v1, 4
	v_addc_co_u32_e32 v9, vcc, 0, v4, vcc
	s_waitcnt vmcnt(1)
	v_lshrrev_b32_e32 v0, 8, v2
	v_and_b32_e32 v3, 15, v2
	v_lshrrev_b16_e32 v4, 4, v2
	v_bfe_u32 v5, v2, 8, 4
	v_bfe_u32 v6, v2, 16, 4
	;; [unrolled: 1-line block ×4, first 2 shown]
	v_lshrrev_b16_sdwa v1, v1, v2 dst_sel:DWORD dst_unused:UNUSED_PAD src0_sel:DWORD src1_sel:BYTE_3
	v_cvt_f32_ubyte0_e32 v2, v3
	v_and_b32_e32 v3, 15, v4
	v_cvt_f32_ubyte0_e32 v4, v5
	v_lshrrev_b16_e32 v5, 4, v0
	v_and_b32_e32 v5, 15, v5
	v_cvt_f32_ubyte0_e32 v6, v6
	v_cvt_f32_ubyte0_e32 v10, v10
	;; [unrolled: 1-line block ×6, first 2 shown]
	s_waitcnt vmcnt(0)
	v_fma_mix_f32 v0, v7, v2, v7 op_sel:[0,0,1] op_sel_hi:[1,0,1]
	v_fma_mix_f32 v1, v7, v4, v7 op_sel:[0,0,1] op_sel_hi:[1,0,1]
	;; [unrolled: 1-line block ×8, first 2 shown]
	global_store_dwordx4 v[8:9], v[0:3], off
	global_store_dwordx4 v[8:9], v[4:7], off offset:64
.LBB21_2:
	s_endpgm
	.section	.rodata,"a",@progbits
	.p2align	6, 0x0
	.amdhsa_kernel _ZL21dequantize_block_q4_1IfEvPKvPT_i
		.amdhsa_group_segment_fixed_size 0
		.amdhsa_private_segment_fixed_size 0
		.amdhsa_kernarg_size 20
		.amdhsa_user_sgpr_count 6
		.amdhsa_user_sgpr_private_segment_buffer 1
		.amdhsa_user_sgpr_dispatch_ptr 0
		.amdhsa_user_sgpr_queue_ptr 0
		.amdhsa_user_sgpr_kernarg_segment_ptr 1
		.amdhsa_user_sgpr_dispatch_id 0
		.amdhsa_user_sgpr_flat_scratch_init 0
		.amdhsa_user_sgpr_private_segment_size 0
		.amdhsa_uses_dynamic_stack 0
		.amdhsa_system_sgpr_private_segment_wavefront_offset 0
		.amdhsa_system_sgpr_workgroup_id_x 1
		.amdhsa_system_sgpr_workgroup_id_y 0
		.amdhsa_system_sgpr_workgroup_id_z 0
		.amdhsa_system_sgpr_workgroup_info 0
		.amdhsa_system_vgpr_workitem_id 0
		.amdhsa_next_free_vgpr 14
		.amdhsa_next_free_sgpr 8
		.amdhsa_reserve_vcc 1
		.amdhsa_reserve_flat_scratch 0
		.amdhsa_float_round_mode_32 0
		.amdhsa_float_round_mode_16_64 0
		.amdhsa_float_denorm_mode_32 3
		.amdhsa_float_denorm_mode_16_64 3
		.amdhsa_dx10_clamp 1
		.amdhsa_ieee_mode 1
		.amdhsa_fp16_overflow 0
		.amdhsa_exception_fp_ieee_invalid_op 0
		.amdhsa_exception_fp_denorm_src 0
		.amdhsa_exception_fp_ieee_div_zero 0
		.amdhsa_exception_fp_ieee_overflow 0
		.amdhsa_exception_fp_ieee_underflow 0
		.amdhsa_exception_fp_ieee_inexact 0
		.amdhsa_exception_int_div_zero 0
	.end_amdhsa_kernel
	.section	.text._ZL21dequantize_block_q4_1IfEvPKvPT_i,"axG",@progbits,_ZL21dequantize_block_q4_1IfEvPKvPT_i,comdat
.Lfunc_end21:
	.size	_ZL21dequantize_block_q4_1IfEvPKvPT_i, .Lfunc_end21-_ZL21dequantize_block_q4_1IfEvPKvPT_i
                                        ; -- End function
	.set _ZL21dequantize_block_q4_1IfEvPKvPT_i.num_vgpr, 14
	.set _ZL21dequantize_block_q4_1IfEvPKvPT_i.num_agpr, 0
	.set _ZL21dequantize_block_q4_1IfEvPKvPT_i.numbered_sgpr, 8
	.set _ZL21dequantize_block_q4_1IfEvPKvPT_i.num_named_barrier, 0
	.set _ZL21dequantize_block_q4_1IfEvPKvPT_i.private_seg_size, 0
	.set _ZL21dequantize_block_q4_1IfEvPKvPT_i.uses_vcc, 1
	.set _ZL21dequantize_block_q4_1IfEvPKvPT_i.uses_flat_scratch, 0
	.set _ZL21dequantize_block_q4_1IfEvPKvPT_i.has_dyn_sized_stack, 0
	.set _ZL21dequantize_block_q4_1IfEvPKvPT_i.has_recursion, 0
	.set _ZL21dequantize_block_q4_1IfEvPKvPT_i.has_indirect_call, 0
	.section	.AMDGPU.csdata,"",@progbits
; Kernel info:
; codeLenInByte = 344
; TotalNumSgprs: 12
; NumVgprs: 14
; ScratchSize: 0
; MemoryBound: 0
; FloatMode: 240
; IeeeMode: 1
; LDSByteSize: 0 bytes/workgroup (compile time only)
; SGPRBlocks: 1
; VGPRBlocks: 3
; NumSGPRsForWavesPerEU: 12
; NumVGPRsForWavesPerEU: 14
; Occupancy: 10
; WaveLimiterHint : 0
; COMPUTE_PGM_RSRC2:SCRATCH_EN: 0
; COMPUTE_PGM_RSRC2:USER_SGPR: 6
; COMPUTE_PGM_RSRC2:TRAP_HANDLER: 0
; COMPUTE_PGM_RSRC2:TGID_X_EN: 1
; COMPUTE_PGM_RSRC2:TGID_Y_EN: 0
; COMPUTE_PGM_RSRC2:TGID_Z_EN: 0
; COMPUTE_PGM_RSRC2:TIDIG_COMP_CNT: 0
	.section	.text._ZL21dequantize_block_q2_KIfEvPKvPT_,"axG",@progbits,_ZL21dequantize_block_q2_KIfEvPKvPT_,comdat
	.globl	_ZL21dequantize_block_q2_KIfEvPKvPT_ ; -- Begin function _ZL21dequantize_block_q2_KIfEvPKvPT_
	.p2align	8
	.type	_ZL21dequantize_block_q2_KIfEvPKvPT_,@function
_ZL21dequantize_block_q2_KIfEvPKvPT_:   ; @_ZL21dequantize_block_q2_KIfEvPKvPT_
; %bb.0:
	s_load_dwordx4 s[0:3], s[4:5], 0x0
	s_mul_i32 s5, s6, 0x54
	v_lshrrev_b32_e32 v3, 5, v0
	s_mul_hi_u32 s4, s6, 0x54
	v_lshlrev_b32_e32 v1, 3, v3
	s_waitcnt lgkmcnt(0)
	s_add_u32 s0, s0, s5
	s_addc_u32 s1, s1, s4
	v_mov_b32_e32 v5, s1
	v_add_co_u32_e32 v1, vcc, s0, v1
	v_bfe_u32 v2, v0, 4, 1
	v_addc_co_u32_e32 v5, vcc, 0, v5, vcc
	v_add_co_u32_e32 v1, vcc, v1, v2
	v_addc_co_u32_e32 v2, vcc, 0, v5, vcc
	global_load_ubyte v4, v0, s[0:1] offset:16
	global_load_ubyte v5, v[1:2], off
	global_load_ubyte v6, v[1:2], off offset:2
	global_load_ubyte v7, v[1:2], off offset:4
	;; [unrolled: 1-line block ×3, first 2 shown]
	s_mov_b32 s7, 0
	s_load_dword s4, s[0:1], 0x50
	s_lshl_b64 s[0:1], s[6:7], 10
	s_add_u32 s0, s2, s0
	v_lshlrev_b32_e32 v1, 9, v3
	s_addc_u32 s1, s3, s1
	v_and_b32_e32 v0, 31, v0
	v_mov_b32_e32 v2, s1
	v_add_co_u32_e32 v1, vcc, s0, v1
	v_lshlrev_b32_e32 v0, 2, v0
	v_addc_co_u32_e32 v2, vcc, 0, v2, vcc
	v_add_co_u32_e32 v0, vcc, v1, v0
	s_waitcnt lgkmcnt(0)
	s_lshr_b32 s0, s4, 16
	v_addc_co_u32_e32 v1, vcc, 0, v2, vcc
	v_cvt_f32_f16_e32 v2, s4
	v_cvt_f32_f16_e32 v3, s0
	s_waitcnt vmcnt(3)
	v_and_b32_e32 v12, 15, v5
	v_lshrrev_b32_e32 v5, 4, v5
	v_and_b32_e32 v9, 3, v4
	s_waitcnt vmcnt(2)
	v_and_b32_e32 v13, 15, v6
	v_lshrrev_b32_e32 v6, 4, v6
	s_waitcnt vmcnt(1)
	v_and_b32_e32 v14, 15, v7
	v_lshrrev_b32_e32 v7, 4, v7
	;; [unrolled: 3-line block ×3, first 2 shown]
	v_cvt_f32_ubyte0_e32 v12, v12
	v_cvt_f32_ubyte0_e32 v5, v5
	v_bfe_u32 v10, v4, 2, 2
	v_bfe_u32 v11, v4, 4, 2
	v_lshrrev_b32_e32 v4, 6, v4
	v_cvt_f32_ubyte0_e32 v9, v9
	v_cvt_f32_ubyte0_e32 v13, v13
	;; [unrolled: 1-line block ×7, first 2 shown]
	v_mul_f32_e32 v12, v2, v12
	v_mul_f32_e32 v5, v3, v5
	v_cvt_f32_ubyte0_e32 v10, v10
	v_cvt_f32_ubyte0_e32 v11, v11
	;; [unrolled: 1-line block ×3, first 2 shown]
	v_mul_f32_e32 v13, v2, v13
	v_mul_f32_e32 v6, v3, v6
	;; [unrolled: 1-line block ×6, first 2 shown]
	v_fma_f32 v5, v12, v9, -v5
	v_fma_f32 v6, v13, v10, -v6
	;; [unrolled: 1-line block ×4, first 2 shown]
	global_store_dword v[0:1], v5, off
	global_store_dword v[0:1], v6, off offset:128
	global_store_dword v[0:1], v7, off offset:256
	;; [unrolled: 1-line block ×3, first 2 shown]
	s_endpgm
	.section	.rodata,"a",@progbits
	.p2align	6, 0x0
	.amdhsa_kernel _ZL21dequantize_block_q2_KIfEvPKvPT_
		.amdhsa_group_segment_fixed_size 0
		.amdhsa_private_segment_fixed_size 0
		.amdhsa_kernarg_size 16
		.amdhsa_user_sgpr_count 6
		.amdhsa_user_sgpr_private_segment_buffer 1
		.amdhsa_user_sgpr_dispatch_ptr 0
		.amdhsa_user_sgpr_queue_ptr 0
		.amdhsa_user_sgpr_kernarg_segment_ptr 1
		.amdhsa_user_sgpr_dispatch_id 0
		.amdhsa_user_sgpr_flat_scratch_init 0
		.amdhsa_user_sgpr_private_segment_size 0
		.amdhsa_uses_dynamic_stack 0
		.amdhsa_system_sgpr_private_segment_wavefront_offset 0
		.amdhsa_system_sgpr_workgroup_id_x 1
		.amdhsa_system_sgpr_workgroup_id_y 0
		.amdhsa_system_sgpr_workgroup_id_z 0
		.amdhsa_system_sgpr_workgroup_info 0
		.amdhsa_system_vgpr_workitem_id 0
		.amdhsa_next_free_vgpr 16
		.amdhsa_next_free_sgpr 8
		.amdhsa_reserve_vcc 1
		.amdhsa_reserve_flat_scratch 0
		.amdhsa_float_round_mode_32 0
		.amdhsa_float_round_mode_16_64 0
		.amdhsa_float_denorm_mode_32 3
		.amdhsa_float_denorm_mode_16_64 3
		.amdhsa_dx10_clamp 1
		.amdhsa_ieee_mode 1
		.amdhsa_fp16_overflow 0
		.amdhsa_exception_fp_ieee_invalid_op 0
		.amdhsa_exception_fp_denorm_src 0
		.amdhsa_exception_fp_ieee_div_zero 0
		.amdhsa_exception_fp_ieee_overflow 0
		.amdhsa_exception_fp_ieee_underflow 0
		.amdhsa_exception_fp_ieee_inexact 0
		.amdhsa_exception_int_div_zero 0
	.end_amdhsa_kernel
	.section	.text._ZL21dequantize_block_q2_KIfEvPKvPT_,"axG",@progbits,_ZL21dequantize_block_q2_KIfEvPKvPT_,comdat
.Lfunc_end22:
	.size	_ZL21dequantize_block_q2_KIfEvPKvPT_, .Lfunc_end22-_ZL21dequantize_block_q2_KIfEvPKvPT_
                                        ; -- End function
	.set _ZL21dequantize_block_q2_KIfEvPKvPT_.num_vgpr, 16
	.set _ZL21dequantize_block_q2_KIfEvPKvPT_.num_agpr, 0
	.set _ZL21dequantize_block_q2_KIfEvPKvPT_.numbered_sgpr, 8
	.set _ZL21dequantize_block_q2_KIfEvPKvPT_.num_named_barrier, 0
	.set _ZL21dequantize_block_q2_KIfEvPKvPT_.private_seg_size, 0
	.set _ZL21dequantize_block_q2_KIfEvPKvPT_.uses_vcc, 1
	.set _ZL21dequantize_block_q2_KIfEvPKvPT_.uses_flat_scratch, 0
	.set _ZL21dequantize_block_q2_KIfEvPKvPT_.has_dyn_sized_stack, 0
	.set _ZL21dequantize_block_q2_KIfEvPKvPT_.has_recursion, 0
	.set _ZL21dequantize_block_q2_KIfEvPKvPT_.has_indirect_call, 0
	.section	.AMDGPU.csdata,"",@progbits
; Kernel info:
; codeLenInByte = 404
; TotalNumSgprs: 12
; NumVgprs: 16
; ScratchSize: 0
; MemoryBound: 0
; FloatMode: 240
; IeeeMode: 1
; LDSByteSize: 0 bytes/workgroup (compile time only)
; SGPRBlocks: 1
; VGPRBlocks: 3
; NumSGPRsForWavesPerEU: 12
; NumVGPRsForWavesPerEU: 16
; Occupancy: 10
; WaveLimiterHint : 0
; COMPUTE_PGM_RSRC2:SCRATCH_EN: 0
; COMPUTE_PGM_RSRC2:USER_SGPR: 6
; COMPUTE_PGM_RSRC2:TRAP_HANDLER: 0
; COMPUTE_PGM_RSRC2:TGID_X_EN: 1
; COMPUTE_PGM_RSRC2:TGID_Y_EN: 0
; COMPUTE_PGM_RSRC2:TGID_Z_EN: 0
; COMPUTE_PGM_RSRC2:TIDIG_COMP_CNT: 0
	.section	.text._ZL21dequantize_block_q3_KIfEvPKvPT_,"axG",@progbits,_ZL21dequantize_block_q3_KIfEvPKvPT_,comdat
	.globl	_ZL21dequantize_block_q3_KIfEvPKvPT_ ; -- Begin function _ZL21dequantize_block_q3_KIfEvPKvPT_
	.p2align	8
	.type	_ZL21dequantize_block_q3_KIfEvPKvPT_,@function
_ZL21dequantize_block_q3_KIfEvPKvPT_:   ; @_ZL21dequantize_block_q3_KIfEvPKvPT_
; %bb.0:
	v_lshrrev_b32_e32 v10, 5, v0
	v_lshrrev_b32_e32 v9, 3, v0
	v_lshlrev_b32_e32 v2, 2, v10
	v_sub_co_u32_e32 v3, vcc, v9, v2
	s_load_dwordx4 s[0:3], s[4:5], 0x0
	v_lshrrev_b32_e32 v1, 2, v0
	v_subb_co_u32_e64 v4, s[4:5], 0, 0, vcc
	v_and_b32_e32 v5, 0xf8, v1
	v_lshlrev_b64 v[1:2], 1, v[3:4]
	v_bfe_u32 v11, v0, 2, 1
	v_add_co_u32_e32 v7, vcc, v1, v5
	v_addc_co_u32_e32 v8, vcc, 0, v2, vcc
	v_or_b32_e32 v5, v7, v11
	v_mov_b32_e32 v6, v8
	v_cmp_lt_i64_e32 vcc, 3, v[5:6]
	s_mov_b32 s7, 0
	s_mul_hi_u32 s12, s6, 0x6e
	s_mul_i32 s13, s6, 0x6e
                                        ; implicit-def: $vgpr12
                                        ; implicit-def: $vgpr2
	s_and_saveexec_b64 s[4:5], vcc
	s_xor_b64 s[4:5], exec, s[4:5]
	s_cbranch_execz .LBB23_10
; %bb.1:
	v_cmp_lt_u64_e32 vcc, 7, v[7:8]
                                        ; implicit-def: $vgpr12
                                        ; implicit-def: $vgpr2
	s_and_saveexec_b64 s[8:9], vcc
	s_xor_b64 s[8:9], exec, s[8:9]
	s_cbranch_execz .LBB23_7
; %bb.2:
	s_waitcnt lgkmcnt(0)
	s_add_u32 s10, s0, s13
	s_addc_u32 s11, s1, s12
	v_mov_b32_e32 v2, s11
	v_add_co_u32_e32 v5, vcc, s10, v5
	v_addc_co_u32_e32 v6, vcc, v2, v6, vcc
	global_load_ubyte v12, v[5:6], off offset:88
	v_cmp_lt_u64_e32 vcc, 11, v[7:8]
                                        ; implicit-def: $vgpr2
	s_and_saveexec_b64 s[10:11], vcc
	s_xor_b64 s[10:11], exec, s[10:11]
	s_cbranch_execz .LBB23_4
; %bb.3:
	global_load_ubyte v2, v[5:6], off offset:92
                                        ; implicit-def: $vgpr5_vgpr6
	s_waitcnt vmcnt(0)
	v_lshrrev_b16_e32 v2, 2, v2
.LBB23_4:
	s_andn2_saveexec_b64 s[10:11], s[10:11]
	s_cbranch_execz .LBB23_6
; %bb.5:
	global_load_ubyte v2, v[5:6], off offset:96
.LBB23_6:
	s_or_b64 exec, exec, s[10:11]
	s_waitcnt vmcnt(0)
	v_lshrrev_b16_e32 v12, 4, v12
                                        ; implicit-def: $vgpr5_vgpr6
.LBB23_7:
	s_andn2_saveexec_b64 s[8:9], s[8:9]
	s_cbranch_execz .LBB23_9
; %bb.8:
	s_waitcnt lgkmcnt(0)
	s_add_u32 s10, s0, s13
	s_addc_u32 s11, s1, s12
	v_mov_b32_e32 v2, s11
	v_add_co_u32_e32 v5, vcc, s10, v5
	v_addc_co_u32_e32 v6, vcc, v2, v6, vcc
	global_load_ubyte v2, v[5:6], off offset:96
	global_load_ubyte v7, v[5:6], off offset:100
	s_waitcnt vmcnt(1)
	v_and_b32_e32 v12, 15, v2
	s_waitcnt vmcnt(0)
	v_lshlrev_b16_e32 v2, 2, v7
.LBB23_9:
	s_or_b64 exec, exec, s[8:9]
                                        ; implicit-def: $vgpr5_vgpr6
.LBB23_10:
	s_andn2_saveexec_b64 s[4:5], s[4:5]
	s_cbranch_execz .LBB23_12
; %bb.11:
	s_waitcnt lgkmcnt(0)
	s_add_u32 s8, s0, s13
	s_addc_u32 s9, s1, s12
	v_mov_b32_e32 v2, s9
	v_add_co_u32_e32 v5, vcc, s8, v5
	v_addc_co_u32_e32 v6, vcc, v2, v6, vcc
	global_load_ubyte v2, v[5:6], off offset:96
	global_load_ubyte v7, v[5:6], off offset:104
	s_waitcnt vmcnt(1)
	v_and_b32_e32 v12, 15, v2
	s_waitcnt vmcnt(0)
	v_lshlrev_b16_e32 v2, 4, v7
.LBB23_12:
	s_or_b64 exec, exec, s[4:5]
	s_waitcnt lgkmcnt(0)
	s_add_u32 s0, s0, s13
	v_lshlrev_b32_e32 v0, 2, v0
	s_addc_u32 s1, s1, s12
	v_lshlrev_b32_e32 v5, 5, v10
	v_and_b32_e32 v0, 12, v0
	v_mov_b32_e32 v6, s1
	v_add_co_u32_e32 v5, vcc, s0, v5
	v_lshl_or_b32 v7, v11, 4, v0
	v_addc_co_u32_e32 v6, vcc, 0, v6, vcc
	v_mov_b32_e32 v0, 0
	v_add_co_u32_e32 v5, vcc, v5, v7
	v_addc_co_u32_e32 v6, vcc, 0, v6, vcc
	global_load_ushort v11, v0, s[0:1] offset:108
	global_load_ubyte v13, v[5:6], off offset:32
	global_load_ubyte v14, v7, s[0:1]
	s_lshl_b64 s[4:5], s[6:7], 10
	s_add_u32 s2, s2, s4
	v_lshlrev_b32_e32 v10, 9, v10
	s_addc_u32 s3, s3, s5
	v_lshlrev_b32_e64 v8, v9, 1
	v_and_b32_e32 v9, 48, v2
	v_lshlrev_b64 v[2:3], 7, v[3:4]
	v_mov_b32_e32 v16, s3
	v_add_co_u32_e32 v10, vcc, s2, v10
	v_addc_co_u32_e32 v16, vcc, 0, v16, vcc
	v_add_co_u32_e32 v2, vcc, v10, v2
	v_addc_co_u32_e32 v3, vcc, v16, v3, vcc
	v_mov_b32_e32 v15, 32
	v_or_b32_e32 v4, v9, v12
	v_sub_u32_sdwa v4, v4, v15 dst_sel:DWORD dst_unused:UNUSED_PAD src0_sel:BYTE_0 src1_sel:DWORD
	v_cvt_f32_i32_e32 v4, v4
	v_lshlrev_b32_e32 v12, 2, v7
	v_add_u32_e32 v9, 4, v7
	v_or_b32_e32 v15, 1, v7
	s_waitcnt vmcnt(2)
	v_cvt_f32_f16_e32 v10, v11
	s_waitcnt vmcnt(1)
	v_lshrrev_b32_e32 v11, v1, v13
	s_waitcnt vmcnt(0)
	v_and_b32_e32 v13, v8, v14
	v_cmp_eq_u32_e32 vcc, 0, v13
	v_cndmask_b32_e64 v13, 0, -4, vcc
	v_and_or_b32 v11, v11, 3, v13
	v_cvt_f32_i32_e32 v11, v11
	v_add_co_u32_e32 v2, vcc, v2, v12
	v_addc_co_u32_e32 v3, vcc, 0, v3, vcc
	v_mul_f32_e32 v4, v10, v4
	v_mul_f32_e32 v10, v4, v11
	v_cmp_gt_u32_e32 vcc, v9, v15
	global_store_dword v[2:3], v10, off
	s_and_saveexec_b64 s[2:3], vcc
	s_cbranch_execz .LBB23_14
; %bb.13:
	v_mov_b32_e32 v10, s1
	v_add_co_u32_e32 v9, vcc, s0, v7
	v_addc_co_u32_e32 v10, vcc, 0, v10, vcc
	global_load_ubyte v11, v[5:6], off offset:33
	global_load_ushort v12, v[5:6], off offset:34
	global_load_ushort v13, v[9:10], off offset:2
	global_load_ubyte v14, v7, s[0:1] offset:1
	s_waitcnt vmcnt(3)
	v_lshrrev_b32_e32 v5, v1, v11
	s_waitcnt vmcnt(2)
	v_lshrrev_b32_sdwa v6, v1, v12 dst_sel:DWORD dst_unused:UNUSED_PAD src0_sel:DWORD src1_sel:BYTE_0
	s_waitcnt vmcnt(1)
	v_and_b32_e32 v9, v13, v8
	s_waitcnt vmcnt(0)
	v_and_b32_e32 v7, v8, v14
	v_and_b32_sdwa v8, v8, v13 dst_sel:DWORD dst_unused:UNUSED_PAD src0_sel:DWORD src1_sel:BYTE_1
	v_cmp_eq_u32_e32 vcc, 0, v7
	v_cndmask_b32_e64 v7, 0, -4, vcc
	v_cmp_eq_u32_sdwa s[0:1], v9, v0 src0_sel:BYTE_0 src1_sel:DWORD
	v_cmp_eq_u32_e32 vcc, 0, v8
	v_lshrrev_b32_sdwa v1, v1, v12 dst_sel:DWORD dst_unused:UNUSED_PAD src0_sel:DWORD src1_sel:BYTE_1
	v_cndmask_b32_e64 v0, 0, -4, s[0:1]
	v_cndmask_b32_e64 v8, 0, -4, vcc
	v_and_or_b32 v5, v5, 3, v7
	v_and_or_b32 v0, v6, 3, v0
	;; [unrolled: 1-line block ×3, first 2 shown]
	v_cvt_f32_i32_e32 v5, v5
	v_cvt_f32_i32_e32 v0, v0
	;; [unrolled: 1-line block ×3, first 2 shown]
	v_mul_f32_e32 v5, v4, v5
	v_mul_f32_e32 v0, v4, v0
	;; [unrolled: 1-line block ×3, first 2 shown]
	global_store_dword v[2:3], v5, off offset:4
	global_store_dwordx2 v[2:3], v[0:1], off offset:8
.LBB23_14:
	s_endpgm
	.section	.rodata,"a",@progbits
	.p2align	6, 0x0
	.amdhsa_kernel _ZL21dequantize_block_q3_KIfEvPKvPT_
		.amdhsa_group_segment_fixed_size 0
		.amdhsa_private_segment_fixed_size 0
		.amdhsa_kernarg_size 16
		.amdhsa_user_sgpr_count 6
		.amdhsa_user_sgpr_private_segment_buffer 1
		.amdhsa_user_sgpr_dispatch_ptr 0
		.amdhsa_user_sgpr_queue_ptr 0
		.amdhsa_user_sgpr_kernarg_segment_ptr 1
		.amdhsa_user_sgpr_dispatch_id 0
		.amdhsa_user_sgpr_flat_scratch_init 0
		.amdhsa_user_sgpr_private_segment_size 0
		.amdhsa_uses_dynamic_stack 0
		.amdhsa_system_sgpr_private_segment_wavefront_offset 0
		.amdhsa_system_sgpr_workgroup_id_x 1
		.amdhsa_system_sgpr_workgroup_id_y 0
		.amdhsa_system_sgpr_workgroup_id_z 0
		.amdhsa_system_sgpr_workgroup_info 0
		.amdhsa_system_vgpr_workitem_id 0
		.amdhsa_next_free_vgpr 17
		.amdhsa_next_free_sgpr 14
		.amdhsa_reserve_vcc 1
		.amdhsa_reserve_flat_scratch 0
		.amdhsa_float_round_mode_32 0
		.amdhsa_float_round_mode_16_64 0
		.amdhsa_float_denorm_mode_32 3
		.amdhsa_float_denorm_mode_16_64 3
		.amdhsa_dx10_clamp 1
		.amdhsa_ieee_mode 1
		.amdhsa_fp16_overflow 0
		.amdhsa_exception_fp_ieee_invalid_op 0
		.amdhsa_exception_fp_denorm_src 0
		.amdhsa_exception_fp_ieee_div_zero 0
		.amdhsa_exception_fp_ieee_overflow 0
		.amdhsa_exception_fp_ieee_underflow 0
		.amdhsa_exception_fp_ieee_inexact 0
		.amdhsa_exception_int_div_zero 0
	.end_amdhsa_kernel
	.section	.text._ZL21dequantize_block_q3_KIfEvPKvPT_,"axG",@progbits,_ZL21dequantize_block_q3_KIfEvPKvPT_,comdat
.Lfunc_end23:
	.size	_ZL21dequantize_block_q3_KIfEvPKvPT_, .Lfunc_end23-_ZL21dequantize_block_q3_KIfEvPKvPT_
                                        ; -- End function
	.set _ZL21dequantize_block_q3_KIfEvPKvPT_.num_vgpr, 17
	.set _ZL21dequantize_block_q3_KIfEvPKvPT_.num_agpr, 0
	.set _ZL21dequantize_block_q3_KIfEvPKvPT_.numbered_sgpr, 14
	.set _ZL21dequantize_block_q3_KIfEvPKvPT_.num_named_barrier, 0
	.set _ZL21dequantize_block_q3_KIfEvPKvPT_.private_seg_size, 0
	.set _ZL21dequantize_block_q3_KIfEvPKvPT_.uses_vcc, 1
	.set _ZL21dequantize_block_q3_KIfEvPKvPT_.uses_flat_scratch, 0
	.set _ZL21dequantize_block_q3_KIfEvPKvPT_.has_dyn_sized_stack, 0
	.set _ZL21dequantize_block_q3_KIfEvPKvPT_.has_recursion, 0
	.set _ZL21dequantize_block_q3_KIfEvPKvPT_.has_indirect_call, 0
	.section	.AMDGPU.csdata,"",@progbits
; Kernel info:
; codeLenInByte = 812
; TotalNumSgprs: 18
; NumVgprs: 17
; ScratchSize: 0
; MemoryBound: 0
; FloatMode: 240
; IeeeMode: 1
; LDSByteSize: 0 bytes/workgroup (compile time only)
; SGPRBlocks: 2
; VGPRBlocks: 4
; NumSGPRsForWavesPerEU: 18
; NumVGPRsForWavesPerEU: 17
; Occupancy: 10
; WaveLimiterHint : 0
; COMPUTE_PGM_RSRC2:SCRATCH_EN: 0
; COMPUTE_PGM_RSRC2:USER_SGPR: 6
; COMPUTE_PGM_RSRC2:TRAP_HANDLER: 0
; COMPUTE_PGM_RSRC2:TGID_X_EN: 1
; COMPUTE_PGM_RSRC2:TGID_Y_EN: 0
; COMPUTE_PGM_RSRC2:TGID_Z_EN: 0
; COMPUTE_PGM_RSRC2:TIDIG_COMP_CNT: 0
	.section	.text._ZL21dequantize_block_q4_KIfEvPKvPT_,"axG",@progbits,_ZL21dequantize_block_q4_KIfEvPKvPT_,comdat
	.globl	_ZL21dequantize_block_q4_KIfEvPKvPT_ ; -- Begin function _ZL21dequantize_block_q4_KIfEvPKvPT_
	.p2align	8
	.type	_ZL21dequantize_block_q4_KIfEvPKvPT_,@function
_ZL21dequantize_block_q4_KIfEvPKvPT_:   ; @_ZL21dequantize_block_q4_KIfEvPKvPT_
; %bb.0:
	s_load_dwordx2 s[0:1], s[4:5], 0x0
	s_mul_i32 s2, s6, 0x90
	v_lshrrev_b32_e32 v3, 3, v0
	s_mul_hi_u32 s3, s6, 0x90
	v_lshlrev_b32_e32 v1, 1, v3
	s_waitcnt lgkmcnt(0)
	s_add_u32 s2, s0, s2
	s_addc_u32 s3, s1, s3
	v_mov_b32_e32 v2, s3
	v_add_co_u32_e64 v1, s[0:1], s2, v1
	v_cmp_lt_u32_e32 vcc, 15, v0
	v_addc_co_u32_e64 v2, s[0:1], 0, v2, s[0:1]
                                        ; implicit-def: $vgpr5
                                        ; implicit-def: $vgpr4
	s_and_saveexec_b64 s[0:1], vcc
	s_xor_b64 s[0:1], exec, s[0:1]
	s_cbranch_execz .LBB24_2
; %bb.1:
	global_load_ubyte v4, v[1:2], off offset:8
	global_load_ubyte v5, v[1:2], off
	global_load_ubyte v6, v[1:2], off offset:4
	s_waitcnt vmcnt(2)
	v_and_b32_e32 v7, 15, v4
	s_waitcnt vmcnt(1)
	v_lshrrev_b16_e32 v5, 2, v5
	v_lshrrev_b16_e32 v8, 4, v4
	s_waitcnt vmcnt(0)
	v_lshrrev_b16_e32 v4, 2, v6
	v_and_b32_e32 v5, 48, v5
	v_and_b32_e32 v6, 48, v4
	v_or_b32_e32 v4, v5, v7
	v_or_b32_e32 v5, v6, v8
.LBB24_2:
	s_andn2_saveexec_b64 s[0:1], s[0:1]
	s_cbranch_execz .LBB24_4
; %bb.3:
	global_load_ubyte v4, v[1:2], off offset:4
	global_load_ubyte v5, v[1:2], off offset:8
	s_waitcnt vmcnt(1)
	v_and_b32_e32 v4, 63, v4
	s_waitcnt vmcnt(0)
	v_and_b32_e32 v5, 63, v5
.LBB24_4:
	s_or_b64 exec, exec, s[0:1]
	s_load_dwordx2 s[0:1], s[4:5], 0x8
	s_load_dword s8, s[2:3], 0x0
	s_mov_b32 s7, 0
                                        ; implicit-def: $vgpr7
                                        ; implicit-def: $vgpr6
	s_and_saveexec_b64 s[2:3], vcc
	s_xor_b64 s[2:3], exec, s[2:3]
	s_cbranch_execz .LBB24_6
; %bb.5:
	global_load_ubyte v6, v[1:2], off offset:9
	global_load_ubyte v7, v[1:2], off offset:1
	;; [unrolled: 1-line block ×3, first 2 shown]
	s_waitcnt vmcnt(2)
	v_and_b32_e32 v9, 15, v6
	s_waitcnt vmcnt(1)
	v_lshrrev_b16_e32 v7, 2, v7
	v_lshrrev_b16_e32 v10, 4, v6
	s_waitcnt vmcnt(0)
	v_lshrrev_b16_e32 v6, 2, v8
	v_and_b32_e32 v7, 48, v7
	v_and_b32_e32 v8, 48, v6
	v_or_b32_e32 v6, v7, v9
	v_or_b32_e32 v7, v8, v10
.LBB24_6:
	s_andn2_saveexec_b64 s[2:3], s[2:3]
	s_cbranch_execz .LBB24_8
; %bb.7:
	global_load_ubyte v6, v[1:2], off offset:5
	global_load_ubyte v7, v[1:2], off offset:9
	s_waitcnt vmcnt(1)
	v_and_b32_e32 v6, 63, v6
	s_waitcnt vmcnt(0)
	v_and_b32_e32 v7, 63, v7
.LBB24_8:
	s_or_b64 exec, exec, s[2:3]
	v_mad_u64_u32 v[1:2], s[2:3], v3, 30, v[1:2]
	v_lshlrev_b32_e32 v0, 2, v0
	v_and_b32_e32 v8, 28, v0
	v_add_co_u32_e32 v0, vcc, v1, v8
	v_addc_co_u32_e32 v1, vcc, 0, v2, vcc
	global_load_dword v0, v[0:1], off offset:16
	s_waitcnt lgkmcnt(0)
	s_lshr_b32 s4, s8, 16
	v_cvt_f32_f16_e32 v2, s8
	s_lshl_b64 s[2:3], s[6:7], 10
	v_cvt_f32_f16_e32 v10, s4
	s_add_u32 s0, s0, s2
	v_lshlrev_b32_e32 v3, 8, v3
	s_addc_u32 s1, s1, s3
	v_cvt_f32_ubyte0_e32 v1, v5
	v_cvt_f32_ubyte0_e32 v5, v6
	v_mov_b32_e32 v9, s1
	v_add_co_u32_e32 v3, vcc, s0, v3
	v_cvt_f32_ubyte0_e32 v4, v4
	v_cvt_f32_ubyte0_e32 v6, v7
	v_mov_b32_e32 v7, 4
	v_lshlrev_b32_e32 v8, 2, v8
	v_addc_co_u32_e32 v9, vcc, 0, v9, vcc
	v_mul_f32_e32 v11, v2, v5
	v_mul_f32_e32 v5, v10, v1
	v_mul_f32_e32 v4, v2, v4
	v_add_co_u32_e32 v8, vcc, v3, v8
	v_mul_f32_e32 v10, v10, v6
	v_addc_co_u32_e32 v9, vcc, 0, v9, vcc
	s_waitcnt vmcnt(0)
	v_lshrrev_b32_e32 v1, 8, v0
	v_and_b32_e32 v2, 15, v0
	v_lshrrev_b16_e32 v3, 4, v0
	v_bfe_u32 v6, v0, 8, 4
	v_bfe_u32 v12, v0, 16, 4
	;; [unrolled: 1-line block ×4, first 2 shown]
	v_lshrrev_b16_sdwa v0, v7, v0 dst_sel:DWORD dst_unused:UNUSED_PAD src0_sel:DWORD src1_sel:BYTE_3
	v_lshrrev_b16_e32 v7, 4, v1
	v_cvt_f32_ubyte0_e32 v2, v2
	v_and_b32_e32 v3, 15, v3
	v_cvt_f32_ubyte0_e32 v6, v6
	v_cvt_f32_ubyte0_e32 v12, v12
	;; [unrolled: 1-line block ×3, first 2 shown]
	v_and_b32_e32 v7, 15, v7
	v_cvt_f32_ubyte0_e32 v13, v13
	v_cvt_f32_ubyte0_e32 v15, v0
	v_fma_f32 v0, v4, v2, -v5
	v_cvt_f32_ubyte0_e32 v16, v3
	v_fma_f32 v1, v4, v6, -v5
	v_fma_f32 v2, v4, v12, -v5
	;; [unrolled: 1-line block ×3, first 2 shown]
	v_cvt_f32_ubyte0_e32 v5, v7
	v_fma_f32 v6, v11, v13, -v10
	v_fma_f32 v4, v11, v16, -v10
	;; [unrolled: 1-line block ×4, first 2 shown]
	global_store_dwordx4 v[8:9], v[0:3], off
	global_store_dwordx4 v[8:9], v[4:7], off offset:128
	s_endpgm
	.section	.rodata,"a",@progbits
	.p2align	6, 0x0
	.amdhsa_kernel _ZL21dequantize_block_q4_KIfEvPKvPT_
		.amdhsa_group_segment_fixed_size 0
		.amdhsa_private_segment_fixed_size 0
		.amdhsa_kernarg_size 16
		.amdhsa_user_sgpr_count 6
		.amdhsa_user_sgpr_private_segment_buffer 1
		.amdhsa_user_sgpr_dispatch_ptr 0
		.amdhsa_user_sgpr_queue_ptr 0
		.amdhsa_user_sgpr_kernarg_segment_ptr 1
		.amdhsa_user_sgpr_dispatch_id 0
		.amdhsa_user_sgpr_flat_scratch_init 0
		.amdhsa_user_sgpr_private_segment_size 0
		.amdhsa_uses_dynamic_stack 0
		.amdhsa_system_sgpr_private_segment_wavefront_offset 0
		.amdhsa_system_sgpr_workgroup_id_x 1
		.amdhsa_system_sgpr_workgroup_id_y 0
		.amdhsa_system_sgpr_workgroup_id_z 0
		.amdhsa_system_sgpr_workgroup_info 0
		.amdhsa_system_vgpr_workitem_id 0
		.amdhsa_next_free_vgpr 17
		.amdhsa_next_free_sgpr 9
		.amdhsa_reserve_vcc 1
		.amdhsa_reserve_flat_scratch 0
		.amdhsa_float_round_mode_32 0
		.amdhsa_float_round_mode_16_64 0
		.amdhsa_float_denorm_mode_32 3
		.amdhsa_float_denorm_mode_16_64 3
		.amdhsa_dx10_clamp 1
		.amdhsa_ieee_mode 1
		.amdhsa_fp16_overflow 0
		.amdhsa_exception_fp_ieee_invalid_op 0
		.amdhsa_exception_fp_denorm_src 0
		.amdhsa_exception_fp_ieee_div_zero 0
		.amdhsa_exception_fp_ieee_overflow 0
		.amdhsa_exception_fp_ieee_underflow 0
		.amdhsa_exception_fp_ieee_inexact 0
		.amdhsa_exception_int_div_zero 0
	.end_amdhsa_kernel
	.section	.text._ZL21dequantize_block_q4_KIfEvPKvPT_,"axG",@progbits,_ZL21dequantize_block_q4_KIfEvPKvPT_,comdat
.Lfunc_end24:
	.size	_ZL21dequantize_block_q4_KIfEvPKvPT_, .Lfunc_end24-_ZL21dequantize_block_q4_KIfEvPKvPT_
                                        ; -- End function
	.set _ZL21dequantize_block_q4_KIfEvPKvPT_.num_vgpr, 17
	.set _ZL21dequantize_block_q4_KIfEvPKvPT_.num_agpr, 0
	.set _ZL21dequantize_block_q4_KIfEvPKvPT_.numbered_sgpr, 9
	.set _ZL21dequantize_block_q4_KIfEvPKvPT_.num_named_barrier, 0
	.set _ZL21dequantize_block_q4_KIfEvPKvPT_.private_seg_size, 0
	.set _ZL21dequantize_block_q4_KIfEvPKvPT_.uses_vcc, 1
	.set _ZL21dequantize_block_q4_KIfEvPKvPT_.uses_flat_scratch, 0
	.set _ZL21dequantize_block_q4_KIfEvPKvPT_.has_dyn_sized_stack, 0
	.set _ZL21dequantize_block_q4_KIfEvPKvPT_.has_recursion, 0
	.set _ZL21dequantize_block_q4_KIfEvPKvPT_.has_indirect_call, 0
	.section	.AMDGPU.csdata,"",@progbits
; Kernel info:
; codeLenInByte = 644
; TotalNumSgprs: 13
; NumVgprs: 17
; ScratchSize: 0
; MemoryBound: 0
; FloatMode: 240
; IeeeMode: 1
; LDSByteSize: 0 bytes/workgroup (compile time only)
; SGPRBlocks: 1
; VGPRBlocks: 4
; NumSGPRsForWavesPerEU: 13
; NumVGPRsForWavesPerEU: 17
; Occupancy: 10
; WaveLimiterHint : 1
; COMPUTE_PGM_RSRC2:SCRATCH_EN: 0
; COMPUTE_PGM_RSRC2:USER_SGPR: 6
; COMPUTE_PGM_RSRC2:TRAP_HANDLER: 0
; COMPUTE_PGM_RSRC2:TGID_X_EN: 1
; COMPUTE_PGM_RSRC2:TGID_Y_EN: 0
; COMPUTE_PGM_RSRC2:TGID_Z_EN: 0
; COMPUTE_PGM_RSRC2:TIDIG_COMP_CNT: 0
	.section	.text._ZL21dequantize_block_q5_KIfEvPKvPT_,"axG",@progbits,_ZL21dequantize_block_q5_KIfEvPKvPT_,comdat
	.globl	_ZL21dequantize_block_q5_KIfEvPKvPT_ ; -- Begin function _ZL21dequantize_block_q5_KIfEvPKvPT_
	.p2align	8
	.type	_ZL21dequantize_block_q5_KIfEvPKvPT_,@function
_ZL21dequantize_block_q5_KIfEvPKvPT_:   ; @_ZL21dequantize_block_q5_KIfEvPKvPT_
; %bb.0:
	s_load_dwordx2 s[0:1], s[4:5], 0x0
	s_mul_i32 s2, s6, 0xb0
	v_lshrrev_b32_e32 v4, 4, v0
	s_mul_hi_u32 s3, s6, 0xb0
	v_lshlrev_b32_e32 v3, 1, v4
	s_waitcnt lgkmcnt(0)
	s_add_u32 s2, s0, s2
	s_addc_u32 s3, s1, s3
	v_mov_b32_e32 v2, s3
	v_add_co_u32_e64 v1, s[0:1], s2, v3
	v_cmp_lt_u32_e32 vcc, 31, v0
	v_addc_co_u32_e64 v2, s[0:1], 0, v2, s[0:1]
                                        ; implicit-def: $vgpr6
                                        ; implicit-def: $vgpr5
	s_and_saveexec_b64 s[0:1], vcc
	s_xor_b64 s[0:1], exec, s[0:1]
	s_cbranch_execz .LBB25_2
; %bb.1:
	global_load_ubyte v5, v[1:2], off offset:8
	global_load_ubyte v6, v[1:2], off
	global_load_ubyte v7, v[1:2], off offset:4
	s_waitcnt vmcnt(2)
	v_and_b32_e32 v8, 15, v5
	s_waitcnt vmcnt(1)
	v_lshrrev_b16_e32 v6, 2, v6
	v_lshrrev_b16_e32 v9, 4, v5
	s_waitcnt vmcnt(0)
	v_lshrrev_b16_e32 v5, 2, v7
	v_and_b32_e32 v6, 48, v6
	v_and_b32_e32 v7, 48, v5
	v_or_b32_e32 v5, v6, v8
	v_or_b32_e32 v6, v7, v9
.LBB25_2:
	s_andn2_saveexec_b64 s[0:1], s[0:1]
	s_cbranch_execz .LBB25_4
; %bb.3:
	global_load_ubyte v5, v[1:2], off offset:4
	global_load_ubyte v6, v[1:2], off offset:8
	s_waitcnt vmcnt(1)
	v_and_b32_e32 v5, 63, v5
	s_waitcnt vmcnt(0)
	v_and_b32_e32 v6, 63, v6
.LBB25_4:
	s_or_b64 exec, exec, s[0:1]
	s_load_dwordx2 s[0:1], s[4:5], 0x8
	s_load_dword s8, s[2:3], 0x0
	s_mov_b32 s7, 0
                                        ; implicit-def: $vgpr8
                                        ; implicit-def: $vgpr7
	s_and_saveexec_b64 s[4:5], vcc
	s_xor_b64 s[4:5], exec, s[4:5]
	s_cbranch_execz .LBB25_6
; %bb.5:
	global_load_ubyte v7, v[1:2], off offset:9
	global_load_ubyte v8, v[1:2], off offset:1
	;; [unrolled: 1-line block ×3, first 2 shown]
	s_waitcnt vmcnt(2)
	v_and_b32_e32 v10, 15, v7
	s_waitcnt vmcnt(1)
	v_lshrrev_b16_e32 v8, 2, v8
	v_lshrrev_b16_e32 v11, 4, v7
	s_waitcnt vmcnt(0)
	v_lshrrev_b16_e32 v7, 2, v9
	v_and_b32_e32 v8, 48, v8
	v_and_b32_e32 v9, 48, v7
	v_or_b32_e32 v7, v8, v10
	v_or_b32_e32 v8, v9, v11
.LBB25_6:
	s_andn2_saveexec_b64 s[4:5], s[4:5]
	s_cbranch_execz .LBB25_8
; %bb.7:
	global_load_ubyte v7, v[1:2], off offset:5
	global_load_ubyte v8, v[1:2], off offset:9
	s_waitcnt vmcnt(1)
	v_and_b32_e32 v7, 63, v7
	s_waitcnt vmcnt(0)
	v_and_b32_e32 v8, 63, v8
.LBB25_8:
	s_or_b64 exec, exec, s[4:5]
	v_mad_u64_u32 v[1:2], s[4:5], v4, 30, v[1:2]
	v_lshlrev_b32_e32 v0, 1, v0
	v_and_b32_e32 v9, 30, v0
	v_add_co_u32_e32 v0, vcc, v1, v9
	v_addc_co_u32_e32 v1, vcc, 0, v2, vcc
	global_load_ushort v2, v[0:1], off offset:48
	global_load_ushort v10, v9, s[2:3] offset:16
	s_waitcnt lgkmcnt(0)
	s_lshr_b32 s4, s8, 16
	s_lshl_b64 s[2:3], s[6:7], 10
	v_cvt_f32_f16_e32 v12, s4
	s_add_u32 s0, s0, s2
	v_cvt_f32_f16_e32 v1, s8
	v_lshlrev_b32_e32 v4, 8, v4
	s_addc_u32 s1, s1, s3
	v_mov_b32_e32 v13, s1
	v_add_co_u32_e32 v4, vcc, s0, v4
	v_cvt_f32_ubyte0_e32 v0, v6
	v_lshlrev_b32_e32 v9, 2, v9
	v_addc_co_u32_e32 v13, vcc, 0, v13, vcc
	v_cvt_f32_ubyte0_e32 v5, v5
	v_cvt_f32_ubyte0_e32 v6, v7
	;; [unrolled: 1-line block ×3, first 2 shown]
	v_lshlrev_b32_e64 v8, v3, 1
	v_mul_f32_e32 v14, v12, v0
	v_add_co_u32_e32 v0, vcc, v4, v9
	v_mul_f32_e32 v5, v1, v5
	v_mul_f32_e32 v6, v1, v6
	v_addc_co_u32_e32 v1, vcc, 0, v13, vcc
	v_lshlrev_b32_e64 v3, v3, 2
	v_mov_b32_e32 v11, 15
	v_mul_f32_e32 v7, v12, v7
	s_waitcnt vmcnt(1)
	v_lshrrev_b16_e32 v12, 4, v2
	s_waitcnt vmcnt(0)
	v_and_b32_sdwa v9, v8, v10 dst_sel:DWORD dst_unused:UNUSED_PAD src0_sel:DWORD src1_sel:BYTE_0
	v_and_b32_sdwa v8, v8, v10 dst_sel:DWORD dst_unused:UNUSED_PAD src0_sel:DWORD src1_sel:BYTE_1
	v_cmp_eq_u32_e32 vcc, 0, v9
	v_and_b32_sdwa v13, v3, v10 dst_sel:DWORD dst_unused:UNUSED_PAD src0_sel:DWORD src1_sel:BYTE_0
	v_cndmask_b32_e64 v9, 16, 0, vcc
	v_cmp_eq_u32_e32 vcc, 0, v8
	v_and_b32_sdwa v3, v3, v10 dst_sel:DWORD dst_unused:UNUSED_PAD src0_sel:DWORD src1_sel:BYTE_1
	v_cndmask_b32_e64 v8, 16, 0, vcc
	v_cmp_eq_u32_e32 vcc, 0, v13
	v_and_b32_e32 v4, 15, v2
	v_and_b32_sdwa v11, v2, v11 dst_sel:DWORD dst_unused:UNUSED_PAD src0_sel:BYTE_1 src1_sel:DWORD
	v_and_b32_e32 v10, 15, v12
	v_cndmask_b32_e64 v12, 16, 0, vcc
	v_cmp_eq_u32_e32 vcc, 0, v3
	v_lshrrev_b16_e32 v2, 12, v2
	v_cndmask_b32_e64 v3, 16, 0, vcc
	v_or_b32_e32 v4, v9, v4
	v_or_b32_e32 v8, v8, v11
	;; [unrolled: 1-line block ×4, first 2 shown]
	v_cvt_f32_ubyte0_e32 v3, v4
	v_cvt_f32_ubyte0_e32 v4, v8
	v_cvt_f32_ubyte0_e32 v8, v9
	v_cvt_f32_ubyte0_e32 v9, v2
	v_fma_f32 v2, v5, v3, -v14
	v_fma_f32 v3, v5, v4, -v14
	;; [unrolled: 1-line block ×4, first 2 shown]
	global_store_dwordx2 v[0:1], v[2:3], off
	global_store_dwordx2 v[0:1], v[4:5], off offset:128
	s_endpgm
	.section	.rodata,"a",@progbits
	.p2align	6, 0x0
	.amdhsa_kernel _ZL21dequantize_block_q5_KIfEvPKvPT_
		.amdhsa_group_segment_fixed_size 0
		.amdhsa_private_segment_fixed_size 0
		.amdhsa_kernarg_size 16
		.amdhsa_user_sgpr_count 6
		.amdhsa_user_sgpr_private_segment_buffer 1
		.amdhsa_user_sgpr_dispatch_ptr 0
		.amdhsa_user_sgpr_queue_ptr 0
		.amdhsa_user_sgpr_kernarg_segment_ptr 1
		.amdhsa_user_sgpr_dispatch_id 0
		.amdhsa_user_sgpr_flat_scratch_init 0
		.amdhsa_user_sgpr_private_segment_size 0
		.amdhsa_uses_dynamic_stack 0
		.amdhsa_system_sgpr_private_segment_wavefront_offset 0
		.amdhsa_system_sgpr_workgroup_id_x 1
		.amdhsa_system_sgpr_workgroup_id_y 0
		.amdhsa_system_sgpr_workgroup_id_z 0
		.amdhsa_system_sgpr_workgroup_info 0
		.amdhsa_system_vgpr_workitem_id 0
		.amdhsa_next_free_vgpr 15
		.amdhsa_next_free_sgpr 9
		.amdhsa_reserve_vcc 1
		.amdhsa_reserve_flat_scratch 0
		.amdhsa_float_round_mode_32 0
		.amdhsa_float_round_mode_16_64 0
		.amdhsa_float_denorm_mode_32 3
		.amdhsa_float_denorm_mode_16_64 3
		.amdhsa_dx10_clamp 1
		.amdhsa_ieee_mode 1
		.amdhsa_fp16_overflow 0
		.amdhsa_exception_fp_ieee_invalid_op 0
		.amdhsa_exception_fp_denorm_src 0
		.amdhsa_exception_fp_ieee_div_zero 0
		.amdhsa_exception_fp_ieee_overflow 0
		.amdhsa_exception_fp_ieee_underflow 0
		.amdhsa_exception_fp_ieee_inexact 0
		.amdhsa_exception_int_div_zero 0
	.end_amdhsa_kernel
	.section	.text._ZL21dequantize_block_q5_KIfEvPKvPT_,"axG",@progbits,_ZL21dequantize_block_q5_KIfEvPKvPT_,comdat
.Lfunc_end25:
	.size	_ZL21dequantize_block_q5_KIfEvPKvPT_, .Lfunc_end25-_ZL21dequantize_block_q5_KIfEvPKvPT_
                                        ; -- End function
	.set _ZL21dequantize_block_q5_KIfEvPKvPT_.num_vgpr, 15
	.set _ZL21dequantize_block_q5_KIfEvPKvPT_.num_agpr, 0
	.set _ZL21dequantize_block_q5_KIfEvPKvPT_.numbered_sgpr, 9
	.set _ZL21dequantize_block_q5_KIfEvPKvPT_.num_named_barrier, 0
	.set _ZL21dequantize_block_q5_KIfEvPKvPT_.private_seg_size, 0
	.set _ZL21dequantize_block_q5_KIfEvPKvPT_.uses_vcc, 1
	.set _ZL21dequantize_block_q5_KIfEvPKvPT_.uses_flat_scratch, 0
	.set _ZL21dequantize_block_q5_KIfEvPKvPT_.has_dyn_sized_stack, 0
	.set _ZL21dequantize_block_q5_KIfEvPKvPT_.has_recursion, 0
	.set _ZL21dequantize_block_q5_KIfEvPKvPT_.has_indirect_call, 0
	.section	.AMDGPU.csdata,"",@progbits
; Kernel info:
; codeLenInByte = 680
; TotalNumSgprs: 13
; NumVgprs: 15
; ScratchSize: 0
; MemoryBound: 0
; FloatMode: 240
; IeeeMode: 1
; LDSByteSize: 0 bytes/workgroup (compile time only)
; SGPRBlocks: 1
; VGPRBlocks: 3
; NumSGPRsForWavesPerEU: 13
; NumVGPRsForWavesPerEU: 15
; Occupancy: 10
; WaveLimiterHint : 1
; COMPUTE_PGM_RSRC2:SCRATCH_EN: 0
; COMPUTE_PGM_RSRC2:USER_SGPR: 6
; COMPUTE_PGM_RSRC2:TRAP_HANDLER: 0
; COMPUTE_PGM_RSRC2:TGID_X_EN: 1
; COMPUTE_PGM_RSRC2:TGID_Y_EN: 0
; COMPUTE_PGM_RSRC2:TGID_Z_EN: 0
; COMPUTE_PGM_RSRC2:TIDIG_COMP_CNT: 0
	.section	.text._ZL21dequantize_block_q6_KIfEvPKvPT_,"axG",@progbits,_ZL21dequantize_block_q6_KIfEvPKvPT_,comdat
	.globl	_ZL21dequantize_block_q6_KIfEvPKvPT_ ; -- Begin function _ZL21dequantize_block_q6_KIfEvPKvPT_
	.p2align	8
	.type	_ZL21dequantize_block_q6_KIfEvPKvPT_,@function
_ZL21dequantize_block_q6_KIfEvPKvPT_:   ; @_ZL21dequantize_block_q6_KIfEvPKvPT_
; %bb.0:
	s_load_dwordx4 s[0:3], s[4:5], 0x0
	s_mov_b32 s7, 0
	s_lshl_b64 s[4:5], s[6:7], 10
	v_lshrrev_b32_e32 v5, 5, v0
	v_lshlrev_b32_e32 v1, 6, v5
	s_waitcnt lgkmcnt(0)
	s_add_u32 s2, s2, s4
	s_addc_u32 s3, s3, s5
	s_mul_i32 s5, s6, 0xd2
	s_mul_hi_u32 s4, s6, 0xd2
	s_add_u32 s0, s0, s5
	s_addc_u32 s1, s1, s4
	v_mov_b32_e32 v2, s1
	v_add_co_u32_e32 v7, vcc, s0, v1
	v_and_b32_e32 v6, 31, v0
	v_addc_co_u32_e32 v8, vcc, 0, v2, vcc
	v_mov_b32_e32 v3, 0
	v_add_co_u32_e32 v1, vcc, v7, v6
	v_addc_co_u32_e32 v2, vcc, 0, v8, vcc
	global_load_ushort v9, v3, s[0:1] offset:208
	global_load_ubyte v10, v0, s[0:1] offset:128
	v_mul_i32_i24_e32 v3, 0xffffffc8, v5
	v_bfe_u32 v4, v0, 4, 1
	v_mul_hi_i32_i24_e32 v0, 0xffffffc8, v5
	v_add_co_u32_e32 v3, vcc, v7, v3
	v_addc_co_u32_e32 v0, vcc, v8, v0, vcc
	v_add_co_u32_e32 v3, vcc, v3, v4
	v_addc_co_u32_e32 v4, vcc, 0, v0, vcc
	global_load_ubyte v7, v[1:2], off
	global_load_sbyte v8, v[3:4], off offset:192
	global_load_sbyte v11, v[3:4], off offset:194
	;; [unrolled: 1-line block ×4, first 2 shown]
	global_load_ubyte v14, v[1:2], off offset:32
	v_lshlrev_b32_e32 v0, 9, v5
	v_mov_b32_e32 v3, s3
	v_add_co_u32_e32 v0, vcc, s2, v0
	v_lshlrev_b32_e32 v1, 2, v6
	v_addc_co_u32_e32 v3, vcc, 0, v3, vcc
	v_add_co_u32_e32 v0, vcc, v0, v1
	v_addc_co_u32_e32 v1, vcc, 0, v3, vcc
	v_mov_b32_e32 v2, 32
	s_waitcnt vmcnt(7)
	v_cvt_f32_f16_e32 v3, v9
	s_waitcnt vmcnt(6)
	v_lshlrev_b16_e32 v4, 4, v10
	v_lshlrev_b16_e32 v5, 2, v10
	v_and_b32_e32 v6, 48, v10
	v_lshrrev_b16_e32 v9, 2, v10
	v_and_b32_e32 v4, 48, v4
	v_and_b32_e32 v5, 48, v5
	;; [unrolled: 1-line block ×3, first 2 shown]
	s_waitcnt vmcnt(5)
	v_and_b32_e32 v10, 15, v7
	v_lshrrev_b16_e32 v7, 4, v7
	v_or_b32_e32 v4, v10, v4
	s_waitcnt vmcnt(3)
	v_cvt_f32_i32_e32 v10, v11
	v_cvt_f32_i32_e32 v8, v8
	s_waitcnt vmcnt(0)
	v_and_b32_e32 v11, 15, v14
	v_or_b32_e32 v6, v7, v6
	v_cvt_f32_i32_e32 v7, v13
	v_lshrrev_b16_e32 v13, 4, v14
	v_sub_u32_sdwa v4, v4, v2 dst_sel:DWORD dst_unused:UNUSED_PAD src0_sel:WORD_0 src1_sel:DWORD
	v_or_b32_e32 v5, v11, v5
	v_cvt_f32_i32_e32 v12, v12
	v_sub_u32_sdwa v6, v6, v2 dst_sel:DWORD dst_unused:UNUSED_PAD src0_sel:WORD_0 src1_sel:DWORD
	v_or_b32_e32 v9, v13, v9
	v_cvt_f32_i32_e32 v4, v4
	v_sub_u32_sdwa v5, v5, v2 dst_sel:DWORD dst_unused:UNUSED_PAD src0_sel:WORD_0 src1_sel:DWORD
	v_cvt_f32_i32_e32 v6, v6
	v_sub_u32_sdwa v2, v9, v2 dst_sel:DWORD dst_unused:UNUSED_PAD src0_sel:WORD_0 src1_sel:DWORD
	v_cvt_f32_i32_e32 v5, v5
	v_cvt_f32_i32_e32 v2, v2
	v_mul_f32_e32 v8, v3, v8
	v_mul_f32_e32 v9, v3, v10
	;; [unrolled: 1-line block ×6, first 2 shown]
	global_store_dword v[0:1], v4, off
	v_mul_f32_e32 v4, v9, v5
	global_store_dword v[0:1], v6, off offset:256
	v_mul_f32_e32 v2, v3, v2
	global_store_dword v[0:1], v4, off offset:128
	global_store_dword v[0:1], v2, off offset:384
	s_endpgm
	.section	.rodata,"a",@progbits
	.p2align	6, 0x0
	.amdhsa_kernel _ZL21dequantize_block_q6_KIfEvPKvPT_
		.amdhsa_group_segment_fixed_size 0
		.amdhsa_private_segment_fixed_size 0
		.amdhsa_kernarg_size 16
		.amdhsa_user_sgpr_count 6
		.amdhsa_user_sgpr_private_segment_buffer 1
		.amdhsa_user_sgpr_dispatch_ptr 0
		.amdhsa_user_sgpr_queue_ptr 0
		.amdhsa_user_sgpr_kernarg_segment_ptr 1
		.amdhsa_user_sgpr_dispatch_id 0
		.amdhsa_user_sgpr_flat_scratch_init 0
		.amdhsa_user_sgpr_private_segment_size 0
		.amdhsa_uses_dynamic_stack 0
		.amdhsa_system_sgpr_private_segment_wavefront_offset 0
		.amdhsa_system_sgpr_workgroup_id_x 1
		.amdhsa_system_sgpr_workgroup_id_y 0
		.amdhsa_system_sgpr_workgroup_id_z 0
		.amdhsa_system_sgpr_workgroup_info 0
		.amdhsa_system_vgpr_workitem_id 0
		.amdhsa_next_free_vgpr 15
		.amdhsa_next_free_sgpr 8
		.amdhsa_reserve_vcc 1
		.amdhsa_reserve_flat_scratch 0
		.amdhsa_float_round_mode_32 0
		.amdhsa_float_round_mode_16_64 0
		.amdhsa_float_denorm_mode_32 3
		.amdhsa_float_denorm_mode_16_64 3
		.amdhsa_dx10_clamp 1
		.amdhsa_ieee_mode 1
		.amdhsa_fp16_overflow 0
		.amdhsa_exception_fp_ieee_invalid_op 0
		.amdhsa_exception_fp_denorm_src 0
		.amdhsa_exception_fp_ieee_div_zero 0
		.amdhsa_exception_fp_ieee_overflow 0
		.amdhsa_exception_fp_ieee_underflow 0
		.amdhsa_exception_fp_ieee_inexact 0
		.amdhsa_exception_int_div_zero 0
	.end_amdhsa_kernel
	.section	.text._ZL21dequantize_block_q6_KIfEvPKvPT_,"axG",@progbits,_ZL21dequantize_block_q6_KIfEvPKvPT_,comdat
.Lfunc_end26:
	.size	_ZL21dequantize_block_q6_KIfEvPKvPT_, .Lfunc_end26-_ZL21dequantize_block_q6_KIfEvPKvPT_
                                        ; -- End function
	.set _ZL21dequantize_block_q6_KIfEvPKvPT_.num_vgpr, 15
	.set _ZL21dequantize_block_q6_KIfEvPKvPT_.num_agpr, 0
	.set _ZL21dequantize_block_q6_KIfEvPKvPT_.numbered_sgpr, 8
	.set _ZL21dequantize_block_q6_KIfEvPKvPT_.num_named_barrier, 0
	.set _ZL21dequantize_block_q6_KIfEvPKvPT_.private_seg_size, 0
	.set _ZL21dequantize_block_q6_KIfEvPKvPT_.uses_vcc, 1
	.set _ZL21dequantize_block_q6_KIfEvPKvPT_.uses_flat_scratch, 0
	.set _ZL21dequantize_block_q6_KIfEvPKvPT_.has_dyn_sized_stack, 0
	.set _ZL21dequantize_block_q6_KIfEvPKvPT_.has_recursion, 0
	.set _ZL21dequantize_block_q6_KIfEvPKvPT_.has_indirect_call, 0
	.section	.AMDGPU.csdata,"",@progbits
; Kernel info:
; codeLenInByte = 440
; TotalNumSgprs: 12
; NumVgprs: 15
; ScratchSize: 0
; MemoryBound: 0
; FloatMode: 240
; IeeeMode: 1
; LDSByteSize: 0 bytes/workgroup (compile time only)
; SGPRBlocks: 1
; VGPRBlocks: 3
; NumSGPRsForWavesPerEU: 12
; NumVGPRsForWavesPerEU: 15
; Occupancy: 10
; WaveLimiterHint : 0
; COMPUTE_PGM_RSRC2:SCRATCH_EN: 0
; COMPUTE_PGM_RSRC2:USER_SGPR: 6
; COMPUTE_PGM_RSRC2:TRAP_HANDLER: 0
; COMPUTE_PGM_RSRC2:TGID_X_EN: 1
; COMPUTE_PGM_RSRC2:TGID_Y_EN: 0
; COMPUTE_PGM_RSRC2:TGID_Z_EN: 0
; COMPUTE_PGM_RSRC2:TIDIG_COMP_CNT: 0
	.section	.text._ZL24dequantize_block_iq2_xxsIfEvPKvPT_,"axG",@progbits,_ZL24dequantize_block_iq2_xxsIfEvPKvPT_,comdat
	.globl	_ZL24dequantize_block_iq2_xxsIfEvPKvPT_ ; -- Begin function _ZL24dequantize_block_iq2_xxsIfEvPKvPT_
	.p2align	8
	.type	_ZL24dequantize_block_iq2_xxsIfEvPKvPT_,@function
_ZL24dequantize_block_iq2_xxsIfEvPKvPT_: ; @_ZL24dequantize_block_iq2_xxsIfEvPKvPT_
; %bb.0:
	s_load_dwordx4 s[0:3], s[4:5], 0x0
	s_mov_b32 s7, 0
	s_lshl_b64 s[4:5], s[6:7], 10
	v_and_b32_e32 v5, 7, v0
	v_lshlrev_b32_e32 v6, 3, v5
	s_waitcnt lgkmcnt(0)
	s_add_u32 s4, s2, s4
	s_addc_u32 s5, s3, s5
	s_mul_i32 s3, s6, 0x42
	s_mul_hi_u32 s2, s6, 0x42
	s_add_u32 s0, s0, s3
	s_addc_u32 s1, s1, s2
	v_mov_b32_e32 v1, s1
	v_add_co_u32_e32 v2, vcc, s0, v6
	v_lshrrev_b32_e32 v3, 3, v0
	v_addc_co_u32_e32 v7, vcc, 0, v1, vcc
	v_add_co_u32_e32 v1, vcc, v2, v3
	v_addc_co_u32_e32 v2, vcc, 0, v7, vcc
	v_mov_b32_e32 v4, 0
	global_load_ubyte v7, v[1:2], off offset:2
	global_load_ushort v10, v4, s[0:1]
	global_load_dword v11, v6, s[0:1] offset:6
	s_getpc_b64 s[0:1]
	s_add_u32 s0, s0, _ZL11iq2xxs_grid@rel32@lo+4
	s_addc_u32 s1, s1, _ZL11iq2xxs_grid@rel32@hi+12
	v_mul_u32_u24_e32 v1, 7, v3
	s_getpc_b64 s[2:3]
	s_add_u32 s2, s2, _ZL12ksigns_iq2xs@rel32@lo+4
	s_addc_u32 s3, s3, _ZL12ksigns_iq2xs@rel32@hi+12
	v_and_b32_e32 v0, 0x3f8, v0
	v_mov_b32_e32 v4, s5
	v_lshlrev_b32_e32 v0, 2, v0
	s_waitcnt vmcnt(2)
	v_lshlrev_b32_e32 v3, 3, v7
	s_waitcnt vmcnt(0)
	v_bfe_u32 v6, v11, v1, 7
	global_load_dwordx2 v[1:2], v3, s[0:1]
	global_load_sbyte v7, v6, s[2:3]
	v_lshlrev_b32_e32 v3, 7, v5
	v_add_co_u32_e32 v3, vcc, s4, v3
	v_addc_co_u32_e32 v4, vcc, 0, v4, vcc
	v_add_co_u32_e32 v8, vcc, v3, v0
	v_cvt_f32_f16_e32 v0, v10
	v_lshrrev_b32_e32 v3, 28, v11
	v_cvt_f32_ubyte0_e32 v3, v3
	v_add_f32_e32 v3, 0.5, v3
	v_mul_f32_e32 v0, v3, v0
	v_addc_co_u32_e32 v9, vcc, 0, v4, vcc
	v_mul_f32_e32 v0, 0x3e800000, v0
	s_waitcnt vmcnt(1)
	v_cvt_f32_ubyte0_e32 v3, v1
	s_waitcnt vmcnt(0)
	v_and_b32_e32 v4, 1, v7
	v_cvt_f32_ubyte1_e32 v5, v1
	v_and_b32_e32 v10, 2, v7
	v_cvt_f32_ubyte2_e32 v11, v1
	v_cvt_f32_ubyte3_e32 v1, v1
	v_cvt_f32_ubyte0_e32 v14, v2
	v_cvt_f32_ubyte1_e32 v16, v2
	v_cvt_f32_ubyte2_e32 v18, v2
	v_cvt_f32_ubyte3_e32 v2, v2
	v_mul_f32_e32 v3, v0, v3
	v_cmp_eq_u16_e32 vcc, 0, v4
	v_and_b32_e32 v12, 4, v7
	v_mul_f32_e32 v5, v0, v5
	v_mul_f32_e32 v11, v0, v11
	;; [unrolled: 1-line block ×7, first 2 shown]
	v_cndmask_b32_e64 v0, -v3, v3, vcc
	v_cmp_eq_u16_e32 vcc, 0, v10
	v_and_b32_e32 v13, 8, v7
	v_cndmask_b32_e64 v1, -v5, v5, vcc
	v_cmp_eq_u16_e32 vcc, 0, v12
	v_and_b32_e32 v15, 16, v7
	;; [unrolled: 3-line block ×3, first 2 shown]
	v_cndmask_b32_e64 v3, -v19, v19, vcc
	v_cmp_eq_u16_e32 vcc, 0, v15
	v_cndmask_b32_e64 v4, -v14, v14, vcc
	v_cmp_eq_u16_e32 vcc, 0, v17
	v_cndmask_b32_e64 v5, -v16, v16, vcc
	v_cmp_gt_u32_e32 vcc, 64, v6
	v_cndmask_b32_e64 v6, -v18, v18, vcc
	v_cmp_gt_i16_e32 vcc, 0, v7
	v_cndmask_b32_e64 v7, v20, -v20, vcc
	global_store_dwordx4 v[8:9], v[0:3], off
	global_store_dwordx4 v[8:9], v[4:7], off offset:16
	s_endpgm
	.section	.rodata,"a",@progbits
	.p2align	6, 0x0
	.amdhsa_kernel _ZL24dequantize_block_iq2_xxsIfEvPKvPT_
		.amdhsa_group_segment_fixed_size 0
		.amdhsa_private_segment_fixed_size 0
		.amdhsa_kernarg_size 16
		.amdhsa_user_sgpr_count 6
		.amdhsa_user_sgpr_private_segment_buffer 1
		.amdhsa_user_sgpr_dispatch_ptr 0
		.amdhsa_user_sgpr_queue_ptr 0
		.amdhsa_user_sgpr_kernarg_segment_ptr 1
		.amdhsa_user_sgpr_dispatch_id 0
		.amdhsa_user_sgpr_flat_scratch_init 0
		.amdhsa_user_sgpr_private_segment_size 0
		.amdhsa_uses_dynamic_stack 0
		.amdhsa_system_sgpr_private_segment_wavefront_offset 0
		.amdhsa_system_sgpr_workgroup_id_x 1
		.amdhsa_system_sgpr_workgroup_id_y 0
		.amdhsa_system_sgpr_workgroup_id_z 0
		.amdhsa_system_sgpr_workgroup_info 0
		.amdhsa_system_vgpr_workitem_id 0
		.amdhsa_next_free_vgpr 21
		.amdhsa_next_free_sgpr 8
		.amdhsa_reserve_vcc 1
		.amdhsa_reserve_flat_scratch 0
		.amdhsa_float_round_mode_32 0
		.amdhsa_float_round_mode_16_64 0
		.amdhsa_float_denorm_mode_32 3
		.amdhsa_float_denorm_mode_16_64 3
		.amdhsa_dx10_clamp 1
		.amdhsa_ieee_mode 1
		.amdhsa_fp16_overflow 0
		.amdhsa_exception_fp_ieee_invalid_op 0
		.amdhsa_exception_fp_denorm_src 0
		.amdhsa_exception_fp_ieee_div_zero 0
		.amdhsa_exception_fp_ieee_overflow 0
		.amdhsa_exception_fp_ieee_underflow 0
		.amdhsa_exception_fp_ieee_inexact 0
		.amdhsa_exception_int_div_zero 0
	.end_amdhsa_kernel
	.section	.text._ZL24dequantize_block_iq2_xxsIfEvPKvPT_,"axG",@progbits,_ZL24dequantize_block_iq2_xxsIfEvPKvPT_,comdat
.Lfunc_end27:
	.size	_ZL24dequantize_block_iq2_xxsIfEvPKvPT_, .Lfunc_end27-_ZL24dequantize_block_iq2_xxsIfEvPKvPT_
                                        ; -- End function
	.set _ZL24dequantize_block_iq2_xxsIfEvPKvPT_.num_vgpr, 21
	.set _ZL24dequantize_block_iq2_xxsIfEvPKvPT_.num_agpr, 0
	.set _ZL24dequantize_block_iq2_xxsIfEvPKvPT_.numbered_sgpr, 8
	.set _ZL24dequantize_block_iq2_xxsIfEvPKvPT_.num_named_barrier, 0
	.set _ZL24dequantize_block_iq2_xxsIfEvPKvPT_.private_seg_size, 0
	.set _ZL24dequantize_block_iq2_xxsIfEvPKvPT_.uses_vcc, 1
	.set _ZL24dequantize_block_iq2_xxsIfEvPKvPT_.uses_flat_scratch, 0
	.set _ZL24dequantize_block_iq2_xxsIfEvPKvPT_.has_dyn_sized_stack, 0
	.set _ZL24dequantize_block_iq2_xxsIfEvPKvPT_.has_recursion, 0
	.set _ZL24dequantize_block_iq2_xxsIfEvPKvPT_.has_indirect_call, 0
	.section	.AMDGPU.csdata,"",@progbits
; Kernel info:
; codeLenInByte = 468
; TotalNumSgprs: 12
; NumVgprs: 21
; ScratchSize: 0
; MemoryBound: 0
; FloatMode: 240
; IeeeMode: 1
; LDSByteSize: 0 bytes/workgroup (compile time only)
; SGPRBlocks: 1
; VGPRBlocks: 5
; NumSGPRsForWavesPerEU: 12
; NumVGPRsForWavesPerEU: 21
; Occupancy: 10
; WaveLimiterHint : 0
; COMPUTE_PGM_RSRC2:SCRATCH_EN: 0
; COMPUTE_PGM_RSRC2:USER_SGPR: 6
; COMPUTE_PGM_RSRC2:TRAP_HANDLER: 0
; COMPUTE_PGM_RSRC2:TGID_X_EN: 1
; COMPUTE_PGM_RSRC2:TGID_Y_EN: 0
; COMPUTE_PGM_RSRC2:TGID_Z_EN: 0
; COMPUTE_PGM_RSRC2:TIDIG_COMP_CNT: 0
	.section	.text._ZL23dequantize_block_iq2_xsIfEvPKvPT_,"axG",@progbits,_ZL23dequantize_block_iq2_xsIfEvPKvPT_,comdat
	.globl	_ZL23dequantize_block_iq2_xsIfEvPKvPT_ ; -- Begin function _ZL23dequantize_block_iq2_xsIfEvPKvPT_
	.p2align	8
	.type	_ZL23dequantize_block_iq2_xsIfEvPKvPT_,@function
_ZL23dequantize_block_iq2_xsIfEvPKvPT_: ; @_ZL23dequantize_block_iq2_xsIfEvPKvPT_
; %bb.0:
	s_load_dwordx4 s[0:3], s[4:5], 0x0
	s_mov_b32 s7, 0
	s_lshl_b64 s[4:5], s[6:7], 10
	v_and_b32_e32 v5, 7, v0
	v_lshlrev_b32_e32 v1, 3, v5
	s_waitcnt lgkmcnt(0)
	s_add_u32 s7, s2, s4
	s_addc_u32 s8, s3, s5
	s_mul_i32 s3, s6, 0x4a
	s_mul_hi_u32 s2, s6, 0x4a
	s_add_u32 s0, s0, s3
	s_addc_u32 s1, s1, s2
	v_mov_b32_e32 v2, s1
	v_add_co_u32_e32 v1, vcc, s0, v1
	v_lshrrev_b32_e32 v6, 2, v0
	v_addc_co_u32_e32 v2, vcc, 0, v2, vcc
	v_and_b32_e32 v3, 0xfe, v6
	v_add_co_u32_e32 v1, vcc, v1, v3
	v_addc_co_u32_e32 v2, vcc, 0, v2, vcc
	global_load_ushort v7, v[1:2], off offset:2
	v_mov_b32_e32 v1, 0
	global_load_ushort v10, v1, s[0:1]
	global_load_ubyte v11, v5, s[0:1] offset:66
	s_getpc_b64 s[2:3]
	s_add_u32 s2, s2, _ZL10iq2xs_grid@rel32@lo+4
	s_addc_u32 s3, s3, _ZL10iq2xs_grid@rel32@hi+12
	v_mov_b32_e32 v2, 3
	s_getpc_b64 s[4:5]
	s_add_u32 s4, s4, _ZL12ksigns_iq2xs@rel32@lo+4
	s_addc_u32 s5, s5, _ZL12ksigns_iq2xs@rel32@hi+12
	v_mov_b32_e32 v3, s5
	v_and_b32_e32 v0, 0x3f8, v0
	v_lshlrev_b32_e32 v0, 2, v0
	s_waitcnt vmcnt(2)
	v_and_b32_e32 v1, 0x1ff, v7
	v_lshrrev_b16_e32 v4, 9, v7
	v_lshlrev_b32_sdwa v8, v2, v1 dst_sel:DWORD dst_unused:UNUSED_PAD src0_sel:DWORD src1_sel:WORD_0
	v_add_co_u32_e32 v1, vcc, s4, v4
	v_addc_co_u32_e32 v2, vcc, 0, v3, vcc
	global_load_dwordx2 v[3:4], v8, s[2:3]
	global_load_sbyte v12, v[1:2], off
	v_lshlrev_b32_e32 v1, 7, v5
	v_mov_b32_e32 v5, s8
	v_add_co_u32_e32 v1, vcc, s7, v1
	v_addc_co_u32_e32 v5, vcc, 0, v5, vcc
	v_and_b32_e32 v2, 0xfc, v6
	v_add_co_u32_e32 v8, vcc, v1, v0
	s_waitcnt vmcnt(3)
	v_cvt_f32_f16_e32 v0, v10
	s_waitcnt vmcnt(2)
	v_bfe_u32 v1, v11, v2, 4
	v_cvt_f32_ubyte0_e32 v1, v1
	v_add_f32_e32 v1, 0.5, v1
	v_mul_f32_e32 v0, v1, v0
	v_addc_co_u32_e32 v9, vcc, 0, v5, vcc
	v_mul_f32_e32 v0, 0x3e800000, v0
	s_waitcnt vmcnt(1)
	v_cvt_f32_ubyte0_e32 v1, v3
	s_waitcnt vmcnt(0)
	v_and_b32_e32 v2, 1, v12
	v_cvt_f32_ubyte1_e32 v5, v3
	v_and_b32_e32 v6, 2, v12
	v_cvt_f32_ubyte2_e32 v10, v3
	v_cvt_f32_ubyte3_e32 v3, v3
	v_cvt_f32_ubyte0_e32 v14, v4
	v_cvt_f32_ubyte1_e32 v16, v4
	v_cvt_f32_ubyte2_e32 v18, v4
	v_cvt_f32_ubyte3_e32 v4, v4
	v_mul_f32_e32 v1, v0, v1
	v_cmp_eq_u16_e32 vcc, 0, v2
	v_and_b32_e32 v11, 4, v12
	v_mul_f32_e32 v5, v0, v5
	v_mul_f32_e32 v10, v0, v10
	;; [unrolled: 1-line block ×7, first 2 shown]
	v_cndmask_b32_e64 v0, -v1, v1, vcc
	v_cmp_eq_u16_e32 vcc, 0, v6
	v_and_b32_e32 v13, 8, v12
	v_cndmask_b32_e64 v1, -v5, v5, vcc
	v_cmp_eq_u16_e32 vcc, 0, v11
	v_and_b32_e32 v15, 16, v12
	;; [unrolled: 3-line block ×3, first 2 shown]
	v_cndmask_b32_e64 v3, -v3, v3, vcc
	v_cmp_eq_u16_e32 vcc, 0, v15
	v_cndmask_b32_e64 v4, -v14, v14, vcc
	v_cmp_eq_u16_e32 vcc, 0, v17
	v_cndmask_b32_e64 v5, -v16, v16, vcc
	v_cmp_gt_i16_e32 vcc, 0, v7
	v_cndmask_b32_e64 v6, v18, -v18, vcc
	v_cmp_gt_i16_e32 vcc, 0, v12
	v_cndmask_b32_e64 v7, v19, -v19, vcc
	global_store_dwordx4 v[8:9], v[0:3], off
	global_store_dwordx4 v[8:9], v[4:7], off offset:16
	s_endpgm
	.section	.rodata,"a",@progbits
	.p2align	6, 0x0
	.amdhsa_kernel _ZL23dequantize_block_iq2_xsIfEvPKvPT_
		.amdhsa_group_segment_fixed_size 0
		.amdhsa_private_segment_fixed_size 0
		.amdhsa_kernarg_size 16
		.amdhsa_user_sgpr_count 6
		.amdhsa_user_sgpr_private_segment_buffer 1
		.amdhsa_user_sgpr_dispatch_ptr 0
		.amdhsa_user_sgpr_queue_ptr 0
		.amdhsa_user_sgpr_kernarg_segment_ptr 1
		.amdhsa_user_sgpr_dispatch_id 0
		.amdhsa_user_sgpr_flat_scratch_init 0
		.amdhsa_user_sgpr_private_segment_size 0
		.amdhsa_uses_dynamic_stack 0
		.amdhsa_system_sgpr_private_segment_wavefront_offset 0
		.amdhsa_system_sgpr_workgroup_id_x 1
		.amdhsa_system_sgpr_workgroup_id_y 0
		.amdhsa_system_sgpr_workgroup_id_z 0
		.amdhsa_system_sgpr_workgroup_info 0
		.amdhsa_system_vgpr_workitem_id 0
		.amdhsa_next_free_vgpr 20
		.amdhsa_next_free_sgpr 9
		.amdhsa_reserve_vcc 1
		.amdhsa_reserve_flat_scratch 0
		.amdhsa_float_round_mode_32 0
		.amdhsa_float_round_mode_16_64 0
		.amdhsa_float_denorm_mode_32 3
		.amdhsa_float_denorm_mode_16_64 3
		.amdhsa_dx10_clamp 1
		.amdhsa_ieee_mode 1
		.amdhsa_fp16_overflow 0
		.amdhsa_exception_fp_ieee_invalid_op 0
		.amdhsa_exception_fp_denorm_src 0
		.amdhsa_exception_fp_ieee_div_zero 0
		.amdhsa_exception_fp_ieee_overflow 0
		.amdhsa_exception_fp_ieee_underflow 0
		.amdhsa_exception_fp_ieee_inexact 0
		.amdhsa_exception_int_div_zero 0
	.end_amdhsa_kernel
	.section	.text._ZL23dequantize_block_iq2_xsIfEvPKvPT_,"axG",@progbits,_ZL23dequantize_block_iq2_xsIfEvPKvPT_,comdat
.Lfunc_end28:
	.size	_ZL23dequantize_block_iq2_xsIfEvPKvPT_, .Lfunc_end28-_ZL23dequantize_block_iq2_xsIfEvPKvPT_
                                        ; -- End function
	.set _ZL23dequantize_block_iq2_xsIfEvPKvPT_.num_vgpr, 20
	.set _ZL23dequantize_block_iq2_xsIfEvPKvPT_.num_agpr, 0
	.set _ZL23dequantize_block_iq2_xsIfEvPKvPT_.numbered_sgpr, 9
	.set _ZL23dequantize_block_iq2_xsIfEvPKvPT_.num_named_barrier, 0
	.set _ZL23dequantize_block_iq2_xsIfEvPKvPT_.private_seg_size, 0
	.set _ZL23dequantize_block_iq2_xsIfEvPKvPT_.uses_vcc, 1
	.set _ZL23dequantize_block_iq2_xsIfEvPKvPT_.uses_flat_scratch, 0
	.set _ZL23dequantize_block_iq2_xsIfEvPKvPT_.has_dyn_sized_stack, 0
	.set _ZL23dequantize_block_iq2_xsIfEvPKvPT_.has_recursion, 0
	.set _ZL23dequantize_block_iq2_xsIfEvPKvPT_.has_indirect_call, 0
	.section	.AMDGPU.csdata,"",@progbits
; Kernel info:
; codeLenInByte = 512
; TotalNumSgprs: 13
; NumVgprs: 20
; ScratchSize: 0
; MemoryBound: 0
; FloatMode: 240
; IeeeMode: 1
; LDSByteSize: 0 bytes/workgroup (compile time only)
; SGPRBlocks: 1
; VGPRBlocks: 4
; NumSGPRsForWavesPerEU: 13
; NumVGPRsForWavesPerEU: 20
; Occupancy: 10
; WaveLimiterHint : 0
; COMPUTE_PGM_RSRC2:SCRATCH_EN: 0
; COMPUTE_PGM_RSRC2:USER_SGPR: 6
; COMPUTE_PGM_RSRC2:TRAP_HANDLER: 0
; COMPUTE_PGM_RSRC2:TGID_X_EN: 1
; COMPUTE_PGM_RSRC2:TGID_Y_EN: 0
; COMPUTE_PGM_RSRC2:TGID_Z_EN: 0
; COMPUTE_PGM_RSRC2:TIDIG_COMP_CNT: 0
	.section	.text._ZL22dequantize_block_iq2_sIfEvPKvPT_,"axG",@progbits,_ZL22dequantize_block_iq2_sIfEvPKvPT_,comdat
	.globl	_ZL22dequantize_block_iq2_sIfEvPKvPT_ ; -- Begin function _ZL22dequantize_block_iq2_sIfEvPKvPT_
	.p2align	8
	.type	_ZL22dequantize_block_iq2_sIfEvPKvPT_,@function
_ZL22dequantize_block_iq2_sIfEvPKvPT_:  ; @_ZL22dequantize_block_iq2_sIfEvPKvPT_
; %bb.0:
	s_load_dwordx4 s[0:3], s[4:5], 0x0
	s_mov_b32 s7, 0
	s_lshl_b64 s[4:5], s[6:7], 10
	v_and_b32_e32 v4, 7, v0
	v_lshlrev_b32_e32 v1, 2, v4
	s_waitcnt lgkmcnt(0)
	s_add_u32 s2, s2, s4
	s_addc_u32 s3, s3, s5
	s_mul_i32 s5, s6, 0x52
	s_mul_hi_u32 s4, s6, 0x52
	s_add_u32 s0, s0, s5
	s_addc_u32 s1, s1, s4
	v_mov_b32_e32 v2, s1
	v_add_co_u32_e32 v1, vcc, s0, v1
	v_lshrrev_b32_e32 v3, 3, v0
	v_addc_co_u32_e32 v2, vcc, 0, v2, vcc
	v_add_co_u32_e32 v1, vcc, v1, v3
	v_addc_co_u32_e32 v2, vcc, 0, v2, vcc
	global_load_ubyte v5, v4, s[0:1] offset:66
	global_load_ubyte v6, v[1:2], off offset:2
	v_mov_b32_e32 v7, 0
	global_load_ushort v10, v7, s[0:1]
	global_load_sbyte v11, v[1:2], off offset:34
	global_load_ubyte v12, v4, s[0:1] offset:74
	v_lshlrev_b32_e32 v1, 1, v3
	v_sub_u32_e32 v1, 8, v1
	s_movk_i32 s4, 0x300
	s_getpc_b64 s[0:1]
	s_add_u32 s0, s0, _ZL9iq2s_grid@rel32@lo+4
	s_addc_u32 s1, s1, _ZL9iq2s_grid@rel32@hi+12
	v_lshlrev_b32_e32 v4, 7, v4
	v_and_b32_e32 v3, 0x3f8, v0
	v_add_co_u32_e32 v4, vcc, s2, v4
	v_lshrrev_b32_e32 v0, 2, v0
	v_lshlrev_b32_e32 v3, 2, v3
	v_and_b32_e32 v0, 0xfc, v0
	s_waitcnt vmcnt(4)
	v_lshlrev_b32_e32 v1, v1, v5
	s_waitcnt vmcnt(3)
	v_and_or_b32 v1, v1, s4, v6
	v_lshlrev_b32_e32 v1, 3, v1
	global_load_dwordx2 v[1:2], v1, s[0:1]
	v_mov_b32_e32 v5, s3
	v_addc_co_u32_e32 v5, vcc, 0, v5, vcc
	v_add_co_u32_e32 v8, vcc, v4, v3
	s_waitcnt vmcnt(3)
	v_cvt_f32_f16_e32 v3, v10
	s_waitcnt vmcnt(1)
	v_bfe_u32 v0, v12, v0, 4
	v_cvt_f32_ubyte0_e32 v0, v0
	v_add_f32_e32 v0, 0.5, v0
	v_mul_f32_e32 v0, v0, v3
	v_addc_co_u32_e32 v9, vcc, 0, v5, vcc
	v_and_b32_e32 v4, 1, v11
	v_mul_f32_e32 v0, 0x3e800000, v0
	v_and_b32_e32 v5, 2, v11
	v_cmp_eq_u16_e32 vcc, 0, v4
	v_and_b32_e32 v6, 4, v11
	v_and_b32_e32 v7, 8, v11
	;; [unrolled: 1-line block ×5, first 2 shown]
	s_waitcnt vmcnt(0)
	v_cvt_f32_ubyte0_e32 v3, v1
	v_cvt_f32_ubyte1_e32 v14, v1
	v_cvt_f32_ubyte2_e32 v15, v1
	v_cvt_f32_ubyte3_e32 v1, v1
	v_cvt_f32_ubyte0_e32 v16, v2
	v_cvt_f32_ubyte1_e32 v17, v2
	v_cvt_f32_ubyte2_e32 v18, v2
	v_cvt_f32_ubyte3_e32 v2, v2
	v_mul_f32_e32 v3, v0, v3
	v_mul_f32_e32 v14, v0, v14
	;; [unrolled: 1-line block ×8, first 2 shown]
	v_cndmask_b32_e64 v0, -v3, v3, vcc
	v_cmp_eq_u16_e32 vcc, 0, v5
	v_cndmask_b32_e64 v1, -v14, v14, vcc
	v_cmp_eq_u16_e32 vcc, 0, v6
	;; [unrolled: 2-line block ×6, first 2 shown]
	v_cndmask_b32_e64 v6, -v18, v18, vcc
	v_cmp_gt_i16_e32 vcc, 0, v11
	v_cndmask_b32_e64 v7, v20, -v20, vcc
	global_store_dwordx4 v[8:9], v[0:3], off
	global_store_dwordx4 v[8:9], v[4:7], off offset:16
	s_endpgm
	.section	.rodata,"a",@progbits
	.p2align	6, 0x0
	.amdhsa_kernel _ZL22dequantize_block_iq2_sIfEvPKvPT_
		.amdhsa_group_segment_fixed_size 0
		.amdhsa_private_segment_fixed_size 0
		.amdhsa_kernarg_size 16
		.amdhsa_user_sgpr_count 6
		.amdhsa_user_sgpr_private_segment_buffer 1
		.amdhsa_user_sgpr_dispatch_ptr 0
		.amdhsa_user_sgpr_queue_ptr 0
		.amdhsa_user_sgpr_kernarg_segment_ptr 1
		.amdhsa_user_sgpr_dispatch_id 0
		.amdhsa_user_sgpr_flat_scratch_init 0
		.amdhsa_user_sgpr_private_segment_size 0
		.amdhsa_uses_dynamic_stack 0
		.amdhsa_system_sgpr_private_segment_wavefront_offset 0
		.amdhsa_system_sgpr_workgroup_id_x 1
		.amdhsa_system_sgpr_workgroup_id_y 0
		.amdhsa_system_sgpr_workgroup_id_z 0
		.amdhsa_system_sgpr_workgroup_info 0
		.amdhsa_system_vgpr_workitem_id 0
		.amdhsa_next_free_vgpr 21
		.amdhsa_next_free_sgpr 8
		.amdhsa_reserve_vcc 1
		.amdhsa_reserve_flat_scratch 0
		.amdhsa_float_round_mode_32 0
		.amdhsa_float_round_mode_16_64 0
		.amdhsa_float_denorm_mode_32 3
		.amdhsa_float_denorm_mode_16_64 3
		.amdhsa_dx10_clamp 1
		.amdhsa_ieee_mode 1
		.amdhsa_fp16_overflow 0
		.amdhsa_exception_fp_ieee_invalid_op 0
		.amdhsa_exception_fp_denorm_src 0
		.amdhsa_exception_fp_ieee_div_zero 0
		.amdhsa_exception_fp_ieee_overflow 0
		.amdhsa_exception_fp_ieee_underflow 0
		.amdhsa_exception_fp_ieee_inexact 0
		.amdhsa_exception_int_div_zero 0
	.end_amdhsa_kernel
	.section	.text._ZL22dequantize_block_iq2_sIfEvPKvPT_,"axG",@progbits,_ZL22dequantize_block_iq2_sIfEvPKvPT_,comdat
.Lfunc_end29:
	.size	_ZL22dequantize_block_iq2_sIfEvPKvPT_, .Lfunc_end29-_ZL22dequantize_block_iq2_sIfEvPKvPT_
                                        ; -- End function
	.set _ZL22dequantize_block_iq2_sIfEvPKvPT_.num_vgpr, 21
	.set _ZL22dequantize_block_iq2_sIfEvPKvPT_.num_agpr, 0
	.set _ZL22dequantize_block_iq2_sIfEvPKvPT_.numbered_sgpr, 8
	.set _ZL22dequantize_block_iq2_sIfEvPKvPT_.num_named_barrier, 0
	.set _ZL22dequantize_block_iq2_sIfEvPKvPT_.private_seg_size, 0
	.set _ZL22dequantize_block_iq2_sIfEvPKvPT_.uses_vcc, 1
	.set _ZL22dequantize_block_iq2_sIfEvPKvPT_.uses_flat_scratch, 0
	.set _ZL22dequantize_block_iq2_sIfEvPKvPT_.has_dyn_sized_stack, 0
	.set _ZL22dequantize_block_iq2_sIfEvPKvPT_.has_recursion, 0
	.set _ZL22dequantize_block_iq2_sIfEvPKvPT_.has_indirect_call, 0
	.section	.AMDGPU.csdata,"",@progbits
; Kernel info:
; codeLenInByte = 492
; TotalNumSgprs: 12
; NumVgprs: 21
; ScratchSize: 0
; MemoryBound: 0
; FloatMode: 240
; IeeeMode: 1
; LDSByteSize: 0 bytes/workgroup (compile time only)
; SGPRBlocks: 1
; VGPRBlocks: 5
; NumSGPRsForWavesPerEU: 12
; NumVGPRsForWavesPerEU: 21
; Occupancy: 10
; WaveLimiterHint : 0
; COMPUTE_PGM_RSRC2:SCRATCH_EN: 0
; COMPUTE_PGM_RSRC2:USER_SGPR: 6
; COMPUTE_PGM_RSRC2:TRAP_HANDLER: 0
; COMPUTE_PGM_RSRC2:TGID_X_EN: 1
; COMPUTE_PGM_RSRC2:TGID_Y_EN: 0
; COMPUTE_PGM_RSRC2:TGID_Z_EN: 0
; COMPUTE_PGM_RSRC2:TIDIG_COMP_CNT: 0
	.section	.text._ZL24dequantize_block_iq3_xxsIfEvPKvPT_,"axG",@progbits,_ZL24dequantize_block_iq3_xxsIfEvPKvPT_,comdat
	.globl	_ZL24dequantize_block_iq3_xxsIfEvPKvPT_ ; -- Begin function _ZL24dequantize_block_iq3_xxsIfEvPKvPT_
	.p2align	8
	.type	_ZL24dequantize_block_iq3_xxsIfEvPKvPT_,@function
_ZL24dequantize_block_iq3_xxsIfEvPKvPT_: ; @_ZL24dequantize_block_iq3_xxsIfEvPKvPT_
; %bb.0:
	s_load_dwordx4 s[0:3], s[4:5], 0x0
	s_mov_b32 s7, 0
	s_lshl_b64 s[4:5], s[6:7], 10
	v_and_b32_e32 v6, 7, v0
	v_lshlrev_b32_e32 v1, 3, v6
	s_waitcnt lgkmcnt(0)
	s_add_u32 s4, s2, s4
	s_addc_u32 s5, s3, s5
	s_mul_i32 s3, s6, 0x62
	s_mul_hi_u32 s2, s6, 0x62
	s_add_u32 s0, s0, s3
	s_addc_u32 s1, s1, s2
	v_mov_b32_e32 v2, s1
	v_add_co_u32_e32 v3, vcc, s0, v1
	v_addc_co_u32_e32 v4, vcc, 0, v2, vcc
	v_lshlrev_b32_e32 v1, 2, v6
	v_sub_co_u32_e32 v1, vcc, 0, v1
	v_lshrrev_b32_e32 v5, 3, v0
	v_subb_co_u32_e64 v2, s[2:3], 0, 0, vcc
	v_add_co_u32_e32 v1, vcc, v3, v1
	v_addc_co_u32_e32 v2, vcc, v4, v2, vcc
	v_lshlrev_b32_e32 v8, 1, v5
	v_add_co_u32_e32 v3, vcc, v3, v8
	v_addc_co_u32_e32 v4, vcc, 0, v4, vcc
	v_mov_b32_e32 v7, 0
	global_load_ushort v8, v[3:4], off offset:2
	global_load_ushort v10, v7, s[0:1]
	global_load_dword v11, v[1:2], off offset:66
	v_mov_b32_e32 v1, 2
	s_getpc_b64 s[0:1]
	s_add_u32 s0, s0, _ZL11iq3xxs_grid@rel32@lo+4
	s_addc_u32 s1, s1, _ZL11iq3xxs_grid@rel32@hi+12
	v_mul_u32_u24_e32 v2, 7, v5
	s_getpc_b64 s[2:3]
	s_add_u32 s2, s2, _ZL12ksigns_iq2xs@rel32@lo+4
	s_addc_u32 s3, s3, _ZL12ksigns_iq2xs@rel32@hi+12
	v_and_b32_e32 v0, 0x3f8, v0
	v_lshlrev_b32_e32 v0, 2, v0
	s_waitcnt vmcnt(2)
	v_lshlrev_b32_sdwa v3, v1, v8 dst_sel:DWORD dst_unused:UNUSED_PAD src0_sel:DWORD src1_sel:BYTE_0
	v_lshlrev_b32_sdwa v1, v1, v8 dst_sel:DWORD dst_unused:UNUSED_PAD src0_sel:DWORD src1_sel:BYTE_1
	s_waitcnt vmcnt(0)
	v_bfe_u32 v7, v11, v2, 7
	global_load_dword v2, v3, s[0:1]
	global_load_sbyte v12, v7, s[2:3]
	global_load_dword v4, v1, s[0:1]
	v_lshlrev_b32_e32 v1, 7, v6
	v_mov_b32_e32 v3, s5
	v_add_co_u32_e32 v1, vcc, s4, v1
	v_addc_co_u32_e32 v3, vcc, 0, v3, vcc
	v_add_co_u32_e32 v8, vcc, v1, v0
	v_cvt_f32_f16_e32 v0, v10
	v_lshrrev_b32_e32 v1, 28, v11
	v_cvt_f32_ubyte0_e32 v1, v1
	v_add_f32_e32 v1, 0.5, v1
	v_mul_f32_e32 v0, v1, v0
	v_addc_co_u32_e32 v9, vcc, 0, v3, vcc
	v_mul_f32_e32 v0, 0.5, v0
	s_waitcnt vmcnt(2)
	v_cvt_f32_ubyte0_e32 v1, v2
	s_waitcnt vmcnt(1)
	v_and_b32_e32 v3, 1, v12
	s_waitcnt vmcnt(0)
	v_cvt_f32_ubyte0_e32 v5, v4
	v_cvt_f32_ubyte1_e32 v10, v2
	v_and_b32_e32 v11, 2, v12
	v_cvt_f32_ubyte1_e32 v13, v4
	v_cvt_f32_ubyte2_e32 v15, v2
	v_cvt_f32_ubyte2_e32 v17, v4
	v_cvt_f32_ubyte3_e32 v2, v2
	v_cvt_f32_ubyte3_e32 v4, v4
	v_mul_f32_e32 v1, v0, v1
	v_cmp_eq_u16_e32 vcc, 0, v3
	v_and_b32_e32 v6, 16, v12
	v_mul_f32_e32 v5, v0, v5
	v_mul_f32_e32 v10, v0, v10
	;; [unrolled: 1-line block ×7, first 2 shown]
	v_cndmask_b32_e64 v0, -v1, v1, vcc
	v_cmp_eq_u16_e32 vcc, 0, v11
	v_and_b32_e32 v14, 32, v12
	v_cndmask_b32_e64 v1, -v10, v10, vcc
	v_cmp_eq_u16_e32 vcc, 0, v6
	v_and_b32_e32 v16, 4, v12
	v_cndmask_b32_e64 v4, -v5, v5, vcc
	v_cmp_eq_u16_e32 vcc, 0, v14
	v_cndmask_b32_e64 v5, -v13, v13, vcc
	v_cmp_eq_u16_e32 vcc, 0, v16
	v_and_b32_e32 v18, 8, v12
	v_cndmask_b32_e64 v2, -v15, v15, vcc
	v_cmp_gt_u32_e32 vcc, 64, v7
	v_cndmask_b32_e64 v6, -v17, v17, vcc
	v_cmp_eq_u16_e32 vcc, 0, v18
	v_cndmask_b32_e64 v3, -v19, v19, vcc
	v_cmp_gt_i16_e32 vcc, 0, v12
	v_cndmask_b32_e64 v7, v20, -v20, vcc
	global_store_dwordx4 v[8:9], v[0:3], off
	global_store_dwordx4 v[8:9], v[4:7], off offset:16
	s_endpgm
	.section	.rodata,"a",@progbits
	.p2align	6, 0x0
	.amdhsa_kernel _ZL24dequantize_block_iq3_xxsIfEvPKvPT_
		.amdhsa_group_segment_fixed_size 0
		.amdhsa_private_segment_fixed_size 0
		.amdhsa_kernarg_size 16
		.amdhsa_user_sgpr_count 6
		.amdhsa_user_sgpr_private_segment_buffer 1
		.amdhsa_user_sgpr_dispatch_ptr 0
		.amdhsa_user_sgpr_queue_ptr 0
		.amdhsa_user_sgpr_kernarg_segment_ptr 1
		.amdhsa_user_sgpr_dispatch_id 0
		.amdhsa_user_sgpr_flat_scratch_init 0
		.amdhsa_user_sgpr_private_segment_size 0
		.amdhsa_uses_dynamic_stack 0
		.amdhsa_system_sgpr_private_segment_wavefront_offset 0
		.amdhsa_system_sgpr_workgroup_id_x 1
		.amdhsa_system_sgpr_workgroup_id_y 0
		.amdhsa_system_sgpr_workgroup_id_z 0
		.amdhsa_system_sgpr_workgroup_info 0
		.amdhsa_system_vgpr_workitem_id 0
		.amdhsa_next_free_vgpr 21
		.amdhsa_next_free_sgpr 8
		.amdhsa_reserve_vcc 1
		.amdhsa_reserve_flat_scratch 0
		.amdhsa_float_round_mode_32 0
		.amdhsa_float_round_mode_16_64 0
		.amdhsa_float_denorm_mode_32 3
		.amdhsa_float_denorm_mode_16_64 3
		.amdhsa_dx10_clamp 1
		.amdhsa_ieee_mode 1
		.amdhsa_fp16_overflow 0
		.amdhsa_exception_fp_ieee_invalid_op 0
		.amdhsa_exception_fp_denorm_src 0
		.amdhsa_exception_fp_ieee_div_zero 0
		.amdhsa_exception_fp_ieee_overflow 0
		.amdhsa_exception_fp_ieee_underflow 0
		.amdhsa_exception_fp_ieee_inexact 0
		.amdhsa_exception_int_div_zero 0
	.end_amdhsa_kernel
	.section	.text._ZL24dequantize_block_iq3_xxsIfEvPKvPT_,"axG",@progbits,_ZL24dequantize_block_iq3_xxsIfEvPKvPT_,comdat
.Lfunc_end30:
	.size	_ZL24dequantize_block_iq3_xxsIfEvPKvPT_, .Lfunc_end30-_ZL24dequantize_block_iq3_xxsIfEvPKvPT_
                                        ; -- End function
	.set _ZL24dequantize_block_iq3_xxsIfEvPKvPT_.num_vgpr, 21
	.set _ZL24dequantize_block_iq3_xxsIfEvPKvPT_.num_agpr, 0
	.set _ZL24dequantize_block_iq3_xxsIfEvPKvPT_.numbered_sgpr, 8
	.set _ZL24dequantize_block_iq3_xxsIfEvPKvPT_.num_named_barrier, 0
	.set _ZL24dequantize_block_iq3_xxsIfEvPKvPT_.private_seg_size, 0
	.set _ZL24dequantize_block_iq3_xxsIfEvPKvPT_.uses_vcc, 1
	.set _ZL24dequantize_block_iq3_xxsIfEvPKvPT_.uses_flat_scratch, 0
	.set _ZL24dequantize_block_iq3_xxsIfEvPKvPT_.has_dyn_sized_stack, 0
	.set _ZL24dequantize_block_iq3_xxsIfEvPKvPT_.has_recursion, 0
	.set _ZL24dequantize_block_iq3_xxsIfEvPKvPT_.has_indirect_call, 0
	.section	.AMDGPU.csdata,"",@progbits
; Kernel info:
; codeLenInByte = 520
; TotalNumSgprs: 12
; NumVgprs: 21
; ScratchSize: 0
; MemoryBound: 0
; FloatMode: 240
; IeeeMode: 1
; LDSByteSize: 0 bytes/workgroup (compile time only)
; SGPRBlocks: 1
; VGPRBlocks: 5
; NumSGPRsForWavesPerEU: 12
; NumVGPRsForWavesPerEU: 21
; Occupancy: 10
; WaveLimiterHint : 0
; COMPUTE_PGM_RSRC2:SCRATCH_EN: 0
; COMPUTE_PGM_RSRC2:USER_SGPR: 6
; COMPUTE_PGM_RSRC2:TRAP_HANDLER: 0
; COMPUTE_PGM_RSRC2:TGID_X_EN: 1
; COMPUTE_PGM_RSRC2:TGID_Y_EN: 0
; COMPUTE_PGM_RSRC2:TGID_Z_EN: 0
; COMPUTE_PGM_RSRC2:TIDIG_COMP_CNT: 0
	.section	.text._ZL22dequantize_block_iq1_sIfEvPKvPT_,"axG",@progbits,_ZL22dequantize_block_iq1_sIfEvPKvPT_,comdat
	.globl	_ZL22dequantize_block_iq1_sIfEvPKvPT_ ; -- Begin function _ZL22dequantize_block_iq1_sIfEvPKvPT_
	.p2align	8
	.type	_ZL22dequantize_block_iq1_sIfEvPKvPT_,@function
_ZL22dequantize_block_iq1_sIfEvPKvPT_:  ; @_ZL22dequantize_block_iq1_sIfEvPKvPT_
; %bb.0:
	s_load_dwordx4 s[0:3], s[4:5], 0x0
	s_mov_b32 s7, 0
	s_lshl_b64 s[4:5], s[6:7], 10
	v_and_b32_e32 v4, 7, v0
	v_lshlrev_b32_e32 v1, 1, v4
	s_waitcnt lgkmcnt(0)
	s_add_u32 s2, s2, s4
	s_addc_u32 s3, s3, s5
	s_mul_i32 s5, s6, 50
	s_mul_hi_u32 s4, s6, 50
	s_add_u32 s0, s0, s5
	s_addc_u32 s1, s1, s4
	v_mov_b32_e32 v2, s1
	v_add_co_u32_e32 v5, vcc, s0, v1
	v_addc_co_u32_e32 v2, vcc, 0, v2, vcc
	global_load_ushort v6, v1, s[0:1] offset:34
	v_add_co_u32_e32 v1, vcc, v5, v1
	v_lshrrev_b32_e32 v3, 3, v0
	v_addc_co_u32_e32 v2, vcc, 0, v2, vcc
	v_add_co_u32_e32 v1, vcc, v1, v3
	v_addc_co_u32_e32 v2, vcc, 0, v2, vcc
	global_load_ubyte v1, v[1:2], off offset:2
	v_mov_b32_e32 v2, 0
	v_mul_u32_u24_e32 v3, 3, v3
	global_load_ushort v2, v2, s[0:1]
	s_movk_i32 s4, 0x700
	s_getpc_b64 s[0:1]
	s_add_u32 s0, s0, _ZL13iq1s_grid_gpu@rel32@lo+4
	s_addc_u32 s1, s1, _ZL13iq1s_grid_gpu@rel32@hi+12
	v_lshlrev_b32_e32 v4, 7, v4
	v_and_b32_e32 v0, 0x3f8, v0
	v_mov_b32_e32 v7, s3
	v_add_co_u32_e32 v4, vcc, s2, v4
	v_lshlrev_b32_e32 v0, 2, v0
	v_addc_co_u32_e32 v7, vcc, 0, v7, vcc
	v_add_co_u32_e32 v8, vcc, v4, v0
	v_addc_co_u32_e32 v9, vcc, 0, v7, vcc
	v_mov_b32_e32 v5, 0xbf600000
	s_waitcnt vmcnt(2)
	v_lshrrev_b32_sdwa v3, v3, v6 dst_sel:DWORD dst_unused:UNUSED_PAD src0_sel:DWORD src1_sel:WORD_0
	v_lshlrev_b32_e32 v3, 8, v3
	v_cmp_lt_i16_e32 vcc, -1, v6
	s_waitcnt vmcnt(1)
	v_and_or_b32 v1, v3, s4, v1
	v_lshlrev_b32_e32 v1, 2, v1
	global_load_dword v1, v1, s[0:1]
	v_mov_b32_e32 v3, 0xbf900000
	v_cndmask_b32_e32 v0, v3, v5, vcc
	s_waitcnt vmcnt(1)
	v_cvt_f32_f16_e32 v2, v2
	v_lshrrev_b16_e32 v3, 11, v6
	v_and_b32_e32 v3, 14, v3
	v_or_b32_e32 v3, 1, v3
	v_cvt_f32_ubyte0_e32 v3, v3
	v_mul_f32_e32 v7, v2, v3
	s_waitcnt vmcnt(0)
	v_and_b32_e32 v2, 0xf000000, v1
	v_and_b32_e32 v3, 15, v1
	v_bfe_u32 v4, v1, 8, 4
	v_bfe_u32 v5, v1, 16, 4
	;; [unrolled: 1-line block ×5, first 2 shown]
	v_lshrrev_b32_e32 v1, 28, v1
	v_cvt_f32_ubyte0_e32 v3, v3
	v_cvt_f32_ubyte0_e32 v4, v4
	;; [unrolled: 1-line block ×3, first 2 shown]
	v_cvt_f32_ubyte3_e32 v2, v2
	v_cvt_f32_ubyte0_e32 v6, v6
	v_cvt_f32_ubyte0_e32 v10, v10
	;; [unrolled: 1-line block ×4, first 2 shown]
	v_add_f32_e32 v3, v0, v3
	v_add_f32_e32 v4, v0, v4
	;; [unrolled: 1-line block ×8, first 2 shown]
	v_mul_f32_e32 v0, v7, v3
	v_mul_f32_e32 v1, v7, v4
	;; [unrolled: 1-line block ×8, first 2 shown]
	global_store_dwordx4 v[8:9], v[0:3], off
	global_store_dwordx4 v[8:9], v[4:7], off offset:16
	s_endpgm
	.section	.rodata,"a",@progbits
	.p2align	6, 0x0
	.amdhsa_kernel _ZL22dequantize_block_iq1_sIfEvPKvPT_
		.amdhsa_group_segment_fixed_size 0
		.amdhsa_private_segment_fixed_size 0
		.amdhsa_kernarg_size 16
		.amdhsa_user_sgpr_count 6
		.amdhsa_user_sgpr_private_segment_buffer 1
		.amdhsa_user_sgpr_dispatch_ptr 0
		.amdhsa_user_sgpr_queue_ptr 0
		.amdhsa_user_sgpr_kernarg_segment_ptr 1
		.amdhsa_user_sgpr_dispatch_id 0
		.amdhsa_user_sgpr_flat_scratch_init 0
		.amdhsa_user_sgpr_private_segment_size 0
		.amdhsa_uses_dynamic_stack 0
		.amdhsa_system_sgpr_private_segment_wavefront_offset 0
		.amdhsa_system_sgpr_workgroup_id_x 1
		.amdhsa_system_sgpr_workgroup_id_y 0
		.amdhsa_system_sgpr_workgroup_id_z 0
		.amdhsa_system_sgpr_workgroup_info 0
		.amdhsa_system_vgpr_workitem_id 0
		.amdhsa_next_free_vgpr 14
		.amdhsa_next_free_sgpr 8
		.amdhsa_reserve_vcc 1
		.amdhsa_reserve_flat_scratch 0
		.amdhsa_float_round_mode_32 0
		.amdhsa_float_round_mode_16_64 0
		.amdhsa_float_denorm_mode_32 3
		.amdhsa_float_denorm_mode_16_64 3
		.amdhsa_dx10_clamp 1
		.amdhsa_ieee_mode 1
		.amdhsa_fp16_overflow 0
		.amdhsa_exception_fp_ieee_invalid_op 0
		.amdhsa_exception_fp_denorm_src 0
		.amdhsa_exception_fp_ieee_div_zero 0
		.amdhsa_exception_fp_ieee_overflow 0
		.amdhsa_exception_fp_ieee_underflow 0
		.amdhsa_exception_fp_ieee_inexact 0
		.amdhsa_exception_int_div_zero 0
	.end_amdhsa_kernel
	.section	.text._ZL22dequantize_block_iq1_sIfEvPKvPT_,"axG",@progbits,_ZL22dequantize_block_iq1_sIfEvPKvPT_,comdat
.Lfunc_end31:
	.size	_ZL22dequantize_block_iq1_sIfEvPKvPT_, .Lfunc_end31-_ZL22dequantize_block_iq1_sIfEvPKvPT_
                                        ; -- End function
	.set _ZL22dequantize_block_iq1_sIfEvPKvPT_.num_vgpr, 14
	.set _ZL22dequantize_block_iq1_sIfEvPKvPT_.num_agpr, 0
	.set _ZL22dequantize_block_iq1_sIfEvPKvPT_.numbered_sgpr, 8
	.set _ZL22dequantize_block_iq1_sIfEvPKvPT_.num_named_barrier, 0
	.set _ZL22dequantize_block_iq1_sIfEvPKvPT_.private_seg_size, 0
	.set _ZL22dequantize_block_iq1_sIfEvPKvPT_.uses_vcc, 1
	.set _ZL22dequantize_block_iq1_sIfEvPKvPT_.uses_flat_scratch, 0
	.set _ZL22dequantize_block_iq1_sIfEvPKvPT_.has_dyn_sized_stack, 0
	.set _ZL22dequantize_block_iq1_sIfEvPKvPT_.has_recursion, 0
	.set _ZL22dequantize_block_iq1_sIfEvPKvPT_.has_indirect_call, 0
	.section	.AMDGPU.csdata,"",@progbits
; Kernel info:
; codeLenInByte = 444
; TotalNumSgprs: 12
; NumVgprs: 14
; ScratchSize: 0
; MemoryBound: 0
; FloatMode: 240
; IeeeMode: 1
; LDSByteSize: 0 bytes/workgroup (compile time only)
; SGPRBlocks: 1
; VGPRBlocks: 3
; NumSGPRsForWavesPerEU: 12
; NumVGPRsForWavesPerEU: 14
; Occupancy: 10
; WaveLimiterHint : 0
; COMPUTE_PGM_RSRC2:SCRATCH_EN: 0
; COMPUTE_PGM_RSRC2:USER_SGPR: 6
; COMPUTE_PGM_RSRC2:TRAP_HANDLER: 0
; COMPUTE_PGM_RSRC2:TGID_X_EN: 1
; COMPUTE_PGM_RSRC2:TGID_Y_EN: 0
; COMPUTE_PGM_RSRC2:TGID_Z_EN: 0
; COMPUTE_PGM_RSRC2:TIDIG_COMP_CNT: 0
	.section	.text._ZL22dequantize_block_iq1_mIfEvPKvPT_,"axG",@progbits,_ZL22dequantize_block_iq1_mIfEvPKvPT_,comdat
	.globl	_ZL22dequantize_block_iq1_mIfEvPKvPT_ ; -- Begin function _ZL22dequantize_block_iq1_mIfEvPKvPT_
	.p2align	8
	.type	_ZL22dequantize_block_iq1_mIfEvPKvPT_,@function
_ZL22dequantize_block_iq1_mIfEvPKvPT_:  ; @_ZL22dequantize_block_iq1_mIfEvPKvPT_
; %bb.0:
	s_load_dwordx4 s[0:3], s[4:5], 0x0
	s_mov_b32 s7, 0
	s_lshl_b64 s[4:5], s[6:7], 10
	v_and_b32_e32 v5, 7, v0
	v_lshlrev_b32_e32 v2, 2, v5
	s_waitcnt lgkmcnt(0)
	s_add_u32 s2, s2, s4
	s_addc_u32 s3, s3, s5
	s_mul_i32 s5, s6, 56
	s_mul_hi_u32 s4, s6, 56
	s_add_u32 s0, s0, s5
	s_addc_u32 s1, s1, s4
	v_mov_b32_e32 v7, s1
	v_add_co_u32_e32 v2, vcc, s0, v2
	v_lshrrev_b32_e32 v1, 3, v0
	v_addc_co_u32_e32 v7, vcc, 0, v7, vcc
	v_add_co_u32_e32 v1, vcc, v2, v1
	v_lshlrev_b32_e32 v3, 1, v5
	v_lshrrev_b32_e32 v4, 4, v0
	v_addc_co_u32_e32 v2, vcc, 0, v7, vcc
	v_add_u32_e32 v6, v3, v4
	global_load_ubyte v7, v[1:2], off
	global_load_ubyte v8, v6, s[0:1] offset:32
	v_mov_b32_e32 v1, 0
	v_add_u16_e32 v3, v3, v4
	global_load_dwordx2 v[1:2], v1, s[0:1] offset:48
	v_lshrrev_b16_e32 v3, 1, v3
	v_and_b32_e32 v3, 62, v3
	v_mov_b32_e32 v4, s1
	v_add_co_u32_e32 v3, vcc, s0, v3
	v_addc_co_u32_e32 v4, vcc, 0, v4, vcc
	global_load_ushort v3, v[3:4], off offset:48
	v_lshrrev_b32_e32 v4, 1, v0
	v_and_b32_e32 v4, 4, v4
	s_movk_i32 s4, 0x700
	s_getpc_b64 s[0:1]
	s_add_u32 s0, s0, _ZL13iq1s_grid_gpu@rel32@lo+4
	s_addc_u32 s1, s1, _ZL13iq1s_grid_gpu@rel32@hi+12
	v_lshlrev_b32_e32 v5, 7, v5
	v_add_co_u32_e32 v5, vcc, s2, v5
	v_and_b32_e32 v0, 0x3f8, v0
	v_and_b32_e32 v6, 3, v6
	v_lshlrev_b32_e32 v0, 2, v0
	v_mul_u32_u24_e32 v6, 3, v6
	v_mov_b32_e32 v10, 0xbf900000
	v_mov_b32_e32 v11, 0xbf600000
	s_waitcnt vmcnt(2)
	v_lshrrev_b32_e32 v4, v4, v8
	v_lshlrev_b32_e32 v8, 8, v4
	v_and_or_b32 v7, v8, s4, v7
	v_lshlrev_b32_e32 v7, 2, v7
	global_load_dword v7, v7, s[0:1]
	s_waitcnt vmcnt(2)
	v_readfirstlane_b32 s0, v1
	v_mov_b32_e32 v8, s3
	v_readfirstlane_b32 s1, v2
	s_bfe_u32 s3, s0, 0x4000c
	s_lshr_b32 s0, s0, 24
	s_lshr_b32 s2, s1, 16
	s_lshr_b32 s1, s1, 4
	s_and_b32 s0, s0, 0xf0
	s_and_b32 s1, s1, 0xf00
	s_or_b32 s0, s0, s3
	s_and_b32 s2, s2, 0xf000
	s_or_b32 s0, s0, s1
	v_addc_co_u32_e32 v9, vcc, 0, v8, vcc
	s_or_b32 s0, s0, s2
	v_add_co_u32_e32 v8, vcc, v5, v0
	s_waitcnt vmcnt(1)
	v_lshrrev_b32_e32 v0, v6, v3
	v_cvt_f32_f16_e32 v2, s0
	v_lshlrev_b32_e32 v0, 1, v0
	v_addc_co_u32_e32 v9, vcc, 0, v9, vcc
	v_and_or_b32 v0, v0, 14, 1
	v_and_b32_e32 v1, 8, v4
	v_cvt_f32_ubyte0_e32 v0, v0
	v_cmp_eq_u32_e32 vcc, 0, v1
	v_cndmask_b32_e32 v1, v10, v11, vcc
	v_mul_f32_e32 v10, v2, v0
	s_waitcnt vmcnt(0)
	v_and_b32_e32 v0, 0xf000000, v7
	v_and_b32_e32 v2, 15, v7
	v_bfe_u32 v3, v7, 8, 4
	v_bfe_u32 v4, v7, 16, 4
	;; [unrolled: 1-line block ×5, first 2 shown]
	v_lshrrev_b32_e32 v7, 28, v7
	v_cvt_f32_ubyte0_e32 v2, v2
	v_cvt_f32_ubyte0_e32 v3, v3
	;; [unrolled: 1-line block ×3, first 2 shown]
	v_cvt_f32_ubyte3_e32 v0, v0
	v_cvt_f32_ubyte0_e32 v5, v5
	v_cvt_f32_ubyte0_e32 v6, v6
	;; [unrolled: 1-line block ×4, first 2 shown]
	v_add_f32_e32 v2, v1, v2
	v_add_f32_e32 v3, v1, v3
	;; [unrolled: 1-line block ×8, first 2 shown]
	v_mul_f32_e32 v0, v10, v2
	v_mul_f32_e32 v1, v10, v3
	v_mul_f32_e32 v2, v10, v4
	v_mul_f32_e32 v3, v10, v12
	v_mul_f32_e32 v4, v10, v5
	v_mul_f32_e32 v5, v10, v6
	v_mul_f32_e32 v6, v10, v11
	v_mul_f32_e32 v7, v10, v7
	global_store_dwordx4 v[8:9], v[0:3], off
	global_store_dwordx4 v[8:9], v[4:7], off offset:16
	s_endpgm
	.section	.rodata,"a",@progbits
	.p2align	6, 0x0
	.amdhsa_kernel _ZL22dequantize_block_iq1_mIfEvPKvPT_
		.amdhsa_group_segment_fixed_size 0
		.amdhsa_private_segment_fixed_size 0
		.amdhsa_kernarg_size 16
		.amdhsa_user_sgpr_count 6
		.amdhsa_user_sgpr_private_segment_buffer 1
		.amdhsa_user_sgpr_dispatch_ptr 0
		.amdhsa_user_sgpr_queue_ptr 0
		.amdhsa_user_sgpr_kernarg_segment_ptr 1
		.amdhsa_user_sgpr_dispatch_id 0
		.amdhsa_user_sgpr_flat_scratch_init 0
		.amdhsa_user_sgpr_private_segment_size 0
		.amdhsa_uses_dynamic_stack 0
		.amdhsa_system_sgpr_private_segment_wavefront_offset 0
		.amdhsa_system_sgpr_workgroup_id_x 1
		.amdhsa_system_sgpr_workgroup_id_y 0
		.amdhsa_system_sgpr_workgroup_id_z 0
		.amdhsa_system_sgpr_workgroup_info 0
		.amdhsa_system_vgpr_workitem_id 0
		.amdhsa_next_free_vgpr 13
		.amdhsa_next_free_sgpr 8
		.amdhsa_reserve_vcc 1
		.amdhsa_reserve_flat_scratch 0
		.amdhsa_float_round_mode_32 0
		.amdhsa_float_round_mode_16_64 0
		.amdhsa_float_denorm_mode_32 3
		.amdhsa_float_denorm_mode_16_64 3
		.amdhsa_dx10_clamp 1
		.amdhsa_ieee_mode 1
		.amdhsa_fp16_overflow 0
		.amdhsa_exception_fp_ieee_invalid_op 0
		.amdhsa_exception_fp_denorm_src 0
		.amdhsa_exception_fp_ieee_div_zero 0
		.amdhsa_exception_fp_ieee_overflow 0
		.amdhsa_exception_fp_ieee_underflow 0
		.amdhsa_exception_fp_ieee_inexact 0
		.amdhsa_exception_int_div_zero 0
	.end_amdhsa_kernel
	.section	.text._ZL22dequantize_block_iq1_mIfEvPKvPT_,"axG",@progbits,_ZL22dequantize_block_iq1_mIfEvPKvPT_,comdat
.Lfunc_end32:
	.size	_ZL22dequantize_block_iq1_mIfEvPKvPT_, .Lfunc_end32-_ZL22dequantize_block_iq1_mIfEvPKvPT_
                                        ; -- End function
	.set _ZL22dequantize_block_iq1_mIfEvPKvPT_.num_vgpr, 13
	.set _ZL22dequantize_block_iq1_mIfEvPKvPT_.num_agpr, 0
	.set _ZL22dequantize_block_iq1_mIfEvPKvPT_.numbered_sgpr, 8
	.set _ZL22dequantize_block_iq1_mIfEvPKvPT_.num_named_barrier, 0
	.set _ZL22dequantize_block_iq1_mIfEvPKvPT_.private_seg_size, 0
	.set _ZL22dequantize_block_iq1_mIfEvPKvPT_.uses_vcc, 1
	.set _ZL22dequantize_block_iq1_mIfEvPKvPT_.uses_flat_scratch, 0
	.set _ZL22dequantize_block_iq1_mIfEvPKvPT_.has_dyn_sized_stack, 0
	.set _ZL22dequantize_block_iq1_mIfEvPKvPT_.has_recursion, 0
	.set _ZL22dequantize_block_iq1_mIfEvPKvPT_.has_indirect_call, 0
	.section	.AMDGPU.csdata,"",@progbits
; Kernel info:
; codeLenInByte = 560
; TotalNumSgprs: 12
; NumVgprs: 13
; ScratchSize: 0
; MemoryBound: 0
; FloatMode: 240
; IeeeMode: 1
; LDSByteSize: 0 bytes/workgroup (compile time only)
; SGPRBlocks: 1
; VGPRBlocks: 3
; NumSGPRsForWavesPerEU: 12
; NumVGPRsForWavesPerEU: 13
; Occupancy: 10
; WaveLimiterHint : 0
; COMPUTE_PGM_RSRC2:SCRATCH_EN: 0
; COMPUTE_PGM_RSRC2:USER_SGPR: 6
; COMPUTE_PGM_RSRC2:TRAP_HANDLER: 0
; COMPUTE_PGM_RSRC2:TGID_X_EN: 1
; COMPUTE_PGM_RSRC2:TGID_Y_EN: 0
; COMPUTE_PGM_RSRC2:TGID_Z_EN: 0
; COMPUTE_PGM_RSRC2:TIDIG_COMP_CNT: 0
	.section	.text._ZL23dequantize_block_iq4_nlIfEvPKvPT_,"axG",@progbits,_ZL23dequantize_block_iq4_nlIfEvPKvPT_,comdat
	.globl	_ZL23dequantize_block_iq4_nlIfEvPKvPT_ ; -- Begin function _ZL23dequantize_block_iq4_nlIfEvPKvPT_
	.p2align	8
	.type	_ZL23dequantize_block_iq4_nlIfEvPKvPT_,@function
_ZL23dequantize_block_iq4_nlIfEvPKvPT_: ; @_ZL23dequantize_block_iq4_nlIfEvPKvPT_
; %bb.0:
	s_load_dwordx4 s[0:3], s[4:5], 0x0
	s_mul_i32 s5, s6, 0x90
	s_mul_hi_u32 s4, s6, 0x90
	v_and_b32_e32 v5, 7, v0
	v_lshrrev_b32_e32 v0, 1, v0
	s_waitcnt lgkmcnt(0)
	s_add_u32 s0, s0, s5
	s_addc_u32 s1, s1, s4
	v_mad_u64_u32 v[1:2], s[0:1], v5, 18, s[0:1]
	v_and_b32_e32 v6, 0x1fc, v0
	s_mov_b32 s7, 0
	v_add_co_u32_e32 v3, vcc, v1, v6
	v_addc_co_u32_e32 v4, vcc, 0, v2, vcc
	global_load_dword v0, v[3:4], off offset:2
	global_load_ushort v7, v[1:2], off
	s_lshl_b64 s[0:1], s[6:7], 10
	s_add_u32 s2, s2, s0
	v_mov_b32_e32 v1, 4
	s_addc_u32 s3, s3, s1
	s_getpc_b64 s[0:1]
	s_add_u32 s0, s0, _ZL13kvalues_iq4nl@rel32@lo+4
	s_addc_u32 s1, s1, _ZL13kvalues_iq4nl@rel32@hi+12
	v_mov_b32_e32 v4, s1
	s_waitcnt vmcnt(1)
	v_lshrrev_b32_e32 v2, 8, v0
	v_and_b32_e32 v3, 15, v0
	v_lshrrev_b16_e32 v8, 4, v0
	v_bfe_u32 v9, v0, 8, 4
	v_bfe_u32 v10, v0, 16, 4
	;; [unrolled: 1-line block ×4, first 2 shown]
	v_lshrrev_b16_sdwa v0, v1, v0 dst_sel:DWORD dst_unused:UNUSED_PAD src0_sel:DWORD src1_sel:BYTE_3
	global_load_sbyte v13, v3, s[0:1]
	v_and_b32_e32 v3, 15, v8
	v_add_co_u32_e32 v0, vcc, s0, v0
	v_lshrrev_b16_e32 v2, 4, v2
	v_addc_co_u32_e32 v1, vcc, 0, v4, vcc
	v_and_b32_e32 v3, 0xffff, v3
	v_and_b32_e32 v8, 15, v2
	v_add_co_u32_e32 v2, vcc, s0, v3
	v_addc_co_u32_e32 v3, vcc, 0, v4, vcc
	v_and_b32_e32 v8, 0xffff, v8
	global_load_sbyte v14, v[2:3], off
	global_load_sbyte v15, v9, s[0:1]
	v_add_co_u32_e32 v2, vcc, s0, v8
	v_addc_co_u32_e32 v3, vcc, 0, v4, vcc
	global_load_sbyte v4, v[2:3], off
	global_load_sbyte v16, v10, s[0:1]
	global_load_sbyte v17, v11, s[0:1]
	;; [unrolled: 1-line block ×3, first 2 shown]
	global_load_sbyte v19, v[0:1], off
	v_lshlrev_b32_e32 v0, 7, v5
	s_waitcnt vmcnt(8)
	v_cvt_f32_f16_e32 v7, v7
	v_mov_b32_e32 v2, s3
	v_add_co_u32_e32 v0, vcc, s2, v0
	v_lshlrev_b32_e32 v1, 2, v6
	v_addc_co_u32_e32 v2, vcc, 0, v2, vcc
	v_add_co_u32_e32 v8, vcc, v0, v1
	v_addc_co_u32_e32 v9, vcc, 0, v2, vcc
	s_waitcnt vmcnt(7)
	v_cvt_f32_i32_e32 v3, v13
	v_mul_f32_e32 v0, v7, v3
	s_waitcnt vmcnt(6)
	v_cvt_f32_i32_e32 v1, v14
	s_waitcnt vmcnt(5)
	v_cvt_f32_i32_e32 v2, v15
	;; [unrolled: 2-line block ×7, first 2 shown]
	v_mul_f32_e32 v4, v7, v1
	v_mul_f32_e32 v1, v7, v2
	;; [unrolled: 1-line block ×7, first 2 shown]
	global_store_dwordx4 v[8:9], v[0:3], off
	global_store_dwordx4 v[8:9], v[4:7], off offset:64
	s_endpgm
	.section	.rodata,"a",@progbits
	.p2align	6, 0x0
	.amdhsa_kernel _ZL23dequantize_block_iq4_nlIfEvPKvPT_
		.amdhsa_group_segment_fixed_size 0
		.amdhsa_private_segment_fixed_size 0
		.amdhsa_kernarg_size 16
		.amdhsa_user_sgpr_count 6
		.amdhsa_user_sgpr_private_segment_buffer 1
		.amdhsa_user_sgpr_dispatch_ptr 0
		.amdhsa_user_sgpr_queue_ptr 0
		.amdhsa_user_sgpr_kernarg_segment_ptr 1
		.amdhsa_user_sgpr_dispatch_id 0
		.amdhsa_user_sgpr_flat_scratch_init 0
		.amdhsa_user_sgpr_private_segment_size 0
		.amdhsa_uses_dynamic_stack 0
		.amdhsa_system_sgpr_private_segment_wavefront_offset 0
		.amdhsa_system_sgpr_workgroup_id_x 1
		.amdhsa_system_sgpr_workgroup_id_y 0
		.amdhsa_system_sgpr_workgroup_id_z 0
		.amdhsa_system_sgpr_workgroup_info 0
		.amdhsa_system_vgpr_workitem_id 0
		.amdhsa_next_free_vgpr 20
		.amdhsa_next_free_sgpr 8
		.amdhsa_reserve_vcc 1
		.amdhsa_reserve_flat_scratch 0
		.amdhsa_float_round_mode_32 0
		.amdhsa_float_round_mode_16_64 0
		.amdhsa_float_denorm_mode_32 3
		.amdhsa_float_denorm_mode_16_64 3
		.amdhsa_dx10_clamp 1
		.amdhsa_ieee_mode 1
		.amdhsa_fp16_overflow 0
		.amdhsa_exception_fp_ieee_invalid_op 0
		.amdhsa_exception_fp_denorm_src 0
		.amdhsa_exception_fp_ieee_div_zero 0
		.amdhsa_exception_fp_ieee_overflow 0
		.amdhsa_exception_fp_ieee_underflow 0
		.amdhsa_exception_fp_ieee_inexact 0
		.amdhsa_exception_int_div_zero 0
	.end_amdhsa_kernel
	.section	.text._ZL23dequantize_block_iq4_nlIfEvPKvPT_,"axG",@progbits,_ZL23dequantize_block_iq4_nlIfEvPKvPT_,comdat
.Lfunc_end33:
	.size	_ZL23dequantize_block_iq4_nlIfEvPKvPT_, .Lfunc_end33-_ZL23dequantize_block_iq4_nlIfEvPKvPT_
                                        ; -- End function
	.set _ZL23dequantize_block_iq4_nlIfEvPKvPT_.num_vgpr, 20
	.set _ZL23dequantize_block_iq4_nlIfEvPKvPT_.num_agpr, 0
	.set _ZL23dequantize_block_iq4_nlIfEvPKvPT_.numbered_sgpr, 8
	.set _ZL23dequantize_block_iq4_nlIfEvPKvPT_.num_named_barrier, 0
	.set _ZL23dequantize_block_iq4_nlIfEvPKvPT_.private_seg_size, 0
	.set _ZL23dequantize_block_iq4_nlIfEvPKvPT_.uses_vcc, 1
	.set _ZL23dequantize_block_iq4_nlIfEvPKvPT_.uses_flat_scratch, 0
	.set _ZL23dequantize_block_iq4_nlIfEvPKvPT_.has_dyn_sized_stack, 0
	.set _ZL23dequantize_block_iq4_nlIfEvPKvPT_.has_recursion, 0
	.set _ZL23dequantize_block_iq4_nlIfEvPKvPT_.has_indirect_call, 0
	.section	.AMDGPU.csdata,"",@progbits
; Kernel info:
; codeLenInByte = 452
; TotalNumSgprs: 12
; NumVgprs: 20
; ScratchSize: 0
; MemoryBound: 0
; FloatMode: 240
; IeeeMode: 1
; LDSByteSize: 0 bytes/workgroup (compile time only)
; SGPRBlocks: 1
; VGPRBlocks: 4
; NumSGPRsForWavesPerEU: 12
; NumVGPRsForWavesPerEU: 20
; Occupancy: 10
; WaveLimiterHint : 0
; COMPUTE_PGM_RSRC2:SCRATCH_EN: 0
; COMPUTE_PGM_RSRC2:USER_SGPR: 6
; COMPUTE_PGM_RSRC2:TRAP_HANDLER: 0
; COMPUTE_PGM_RSRC2:TGID_X_EN: 1
; COMPUTE_PGM_RSRC2:TGID_Y_EN: 0
; COMPUTE_PGM_RSRC2:TGID_Z_EN: 0
; COMPUTE_PGM_RSRC2:TIDIG_COMP_CNT: 0
	.section	.text._ZL23dequantize_block_iq4_xsIfEvPKvPT_,"axG",@progbits,_ZL23dequantize_block_iq4_xsIfEvPKvPT_,comdat
	.globl	_ZL23dequantize_block_iq4_xsIfEvPKvPT_ ; -- Begin function _ZL23dequantize_block_iq4_xsIfEvPKvPT_
	.p2align	8
	.type	_ZL23dequantize_block_iq4_xsIfEvPKvPT_,@function
_ZL23dequantize_block_iq4_xsIfEvPKvPT_: ; @_ZL23dequantize_block_iq4_xsIfEvPKvPT_
; %bb.0:
	s_load_dwordx4 s[0:3], s[4:5], 0x0
	s_mov_b32 s7, 0
	s_lshl_b64 s[4:5], s[6:7], 10
	v_and_b32_e32 v1, 7, v0
	v_lshlrev_b32_e32 v3, 4, v1
	s_waitcnt lgkmcnt(0)
	s_add_u32 s2, s2, s4
	s_addc_u32 s3, s3, s5
	s_mul_i32 s5, s6, 0x88
	s_mul_hi_u32 s4, s6, 0x88
	s_add_u32 s0, s0, s5
	s_addc_u32 s1, s1, s4
	v_lshrrev_b32_e32 v2, 1, v0
	v_mov_b32_e32 v4, s1
	v_add_co_u32_e32 v3, vcc, s0, v3
	v_and_b32_e32 v2, 0x1fc, v2
	v_addc_co_u32_e32 v4, vcc, 0, v4, vcc
	v_add_co_u32_e32 v3, vcc, v3, v2
	v_addc_co_u32_e32 v4, vcc, 0, v4, vcc
	global_load_dword v3, v[3:4], off offset:8
	v_mov_b32_e32 v4, 0
	v_bfe_u32 v5, v0, 1, 2
	global_load_dword v7, v4, s[0:1]
	global_load_ubyte v8, v5, s[0:1] offset:4
	v_mov_b32_e32 v4, 4
	s_getpc_b64 s[0:1]
	s_add_u32 s0, s0, _ZL13kvalues_iq4nl@rel32@lo+4
	s_addc_u32 s1, s1, _ZL13kvalues_iq4nl@rel32@hi+12
	v_mov_b32_e32 v9, s1
	v_lshlrev_b32_e32 v0, 2, v0
	v_and_b32_e32 v0, 4, v0
	v_lshlrev_b32_e32 v2, 2, v2
	s_waitcnt vmcnt(2)
	v_lshrrev_b32_e32 v5, 8, v3
	v_and_b32_e32 v10, 15, v3
	v_lshrrev_b16_e32 v6, 4, v3
	v_bfe_u32 v11, v3, 8, 4
	v_bfe_u32 v12, v3, 16, 4
	;; [unrolled: 1-line block ×4, first 2 shown]
	v_lshrrev_b16_sdwa v3, v4, v3 dst_sel:DWORD dst_unused:UNUSED_PAD src0_sel:DWORD src1_sel:BYTE_3
	v_and_b32_e32 v6, 15, v6
	v_add_co_u32_e32 v3, vcc, s0, v3
	v_lshrrev_b16_e32 v5, 4, v5
	v_addc_co_u32_e32 v4, vcc, 0, v9, vcc
	v_and_b32_e32 v6, 0xffff, v6
	v_and_b32_e32 v15, 15, v5
	v_add_co_u32_e32 v5, vcc, s0, v6
	v_addc_co_u32_e32 v6, vcc, 0, v9, vcc
	v_and_b32_e32 v15, 0xffff, v15
	global_load_sbyte v16, v10, s[0:1]
	global_load_sbyte v17, v[5:6], off
	global_load_sbyte v18, v11, s[0:1]
	v_add_co_u32_e32 v5, vcc, s0, v15
	v_addc_co_u32_e32 v6, vcc, 0, v9, vcc
	global_load_sbyte v10, v[5:6], off
	global_load_sbyte v11, v12, s[0:1]
	global_load_sbyte v15, v13, s[0:1]
	;; [unrolled: 1-line block ×3, first 2 shown]
	global_load_sbyte v20, v[3:4], off
	v_lshlrev_b32_e32 v3, 7, v1
	v_lshlrev_b32_e32 v1, 1, v1
	s_waitcnt vmcnt(9)
	v_lshrrev_b32_sdwa v1, v1, v7 dst_sel:DWORD dst_unused:UNUSED_PAD src0_sel:DWORD src1_sel:WORD_1
	s_waitcnt vmcnt(8)
	v_bfe_u32 v0, v8, v0, 4
	v_lshlrev_b32_e32 v1, 4, v1
	v_and_or_b32 v0, v1, 48, v0
	v_subrev_u32_e32 v0, 32, v0
	v_cvt_f32_f16_e32 v5, v7
	v_cvt_f32_i32_e32 v0, v0
	v_mov_b32_e32 v4, s3
	v_add_co_u32_e32 v3, vcc, s2, v3
	v_addc_co_u32_e32 v4, vcc, 0, v4, vcc
	v_add_co_u32_e32 v8, vcc, v3, v2
	v_mul_f32_e32 v7, v5, v0
	v_addc_co_u32_e32 v9, vcc, 0, v4, vcc
	s_waitcnt vmcnt(7)
	v_cvt_f32_i32_e32 v1, v16
	s_waitcnt vmcnt(6)
	v_cvt_f32_i32_e32 v2, v17
	;; [unrolled: 2-line block ×8, first 2 shown]
	v_mul_f32_e32 v0, v7, v1
	v_mul_f32_e32 v4, v7, v2
	;; [unrolled: 1-line block ×8, first 2 shown]
	global_store_dwordx4 v[8:9], v[0:3], off
	global_store_dwordx4 v[8:9], v[4:7], off offset:64
	s_endpgm
	.section	.rodata,"a",@progbits
	.p2align	6, 0x0
	.amdhsa_kernel _ZL23dequantize_block_iq4_xsIfEvPKvPT_
		.amdhsa_group_segment_fixed_size 0
		.amdhsa_private_segment_fixed_size 0
		.amdhsa_kernarg_size 16
		.amdhsa_user_sgpr_count 6
		.amdhsa_user_sgpr_private_segment_buffer 1
		.amdhsa_user_sgpr_dispatch_ptr 0
		.amdhsa_user_sgpr_queue_ptr 0
		.amdhsa_user_sgpr_kernarg_segment_ptr 1
		.amdhsa_user_sgpr_dispatch_id 0
		.amdhsa_user_sgpr_flat_scratch_init 0
		.amdhsa_user_sgpr_private_segment_size 0
		.amdhsa_uses_dynamic_stack 0
		.amdhsa_system_sgpr_private_segment_wavefront_offset 0
		.amdhsa_system_sgpr_workgroup_id_x 1
		.amdhsa_system_sgpr_workgroup_id_y 0
		.amdhsa_system_sgpr_workgroup_id_z 0
		.amdhsa_system_sgpr_workgroup_info 0
		.amdhsa_system_vgpr_workitem_id 0
		.amdhsa_next_free_vgpr 21
		.amdhsa_next_free_sgpr 8
		.amdhsa_reserve_vcc 1
		.amdhsa_reserve_flat_scratch 0
		.amdhsa_float_round_mode_32 0
		.amdhsa_float_round_mode_16_64 0
		.amdhsa_float_denorm_mode_32 3
		.amdhsa_float_denorm_mode_16_64 3
		.amdhsa_dx10_clamp 1
		.amdhsa_ieee_mode 1
		.amdhsa_fp16_overflow 0
		.amdhsa_exception_fp_ieee_invalid_op 0
		.amdhsa_exception_fp_denorm_src 0
		.amdhsa_exception_fp_ieee_div_zero 0
		.amdhsa_exception_fp_ieee_overflow 0
		.amdhsa_exception_fp_ieee_underflow 0
		.amdhsa_exception_fp_ieee_inexact 0
		.amdhsa_exception_int_div_zero 0
	.end_amdhsa_kernel
	.section	.text._ZL23dequantize_block_iq4_xsIfEvPKvPT_,"axG",@progbits,_ZL23dequantize_block_iq4_xsIfEvPKvPT_,comdat
.Lfunc_end34:
	.size	_ZL23dequantize_block_iq4_xsIfEvPKvPT_, .Lfunc_end34-_ZL23dequantize_block_iq4_xsIfEvPKvPT_
                                        ; -- End function
	.set _ZL23dequantize_block_iq4_xsIfEvPKvPT_.num_vgpr, 21
	.set _ZL23dequantize_block_iq4_xsIfEvPKvPT_.num_agpr, 0
	.set _ZL23dequantize_block_iq4_xsIfEvPKvPT_.numbered_sgpr, 8
	.set _ZL23dequantize_block_iq4_xsIfEvPKvPT_.num_named_barrier, 0
	.set _ZL23dequantize_block_iq4_xsIfEvPKvPT_.private_seg_size, 0
	.set _ZL23dequantize_block_iq4_xsIfEvPKvPT_.uses_vcc, 1
	.set _ZL23dequantize_block_iq4_xsIfEvPKvPT_.uses_flat_scratch, 0
	.set _ZL23dequantize_block_iq4_xsIfEvPKvPT_.has_dyn_sized_stack, 0
	.set _ZL23dequantize_block_iq4_xsIfEvPKvPT_.has_recursion, 0
	.set _ZL23dequantize_block_iq4_xsIfEvPKvPT_.has_indirect_call, 0
	.section	.AMDGPU.csdata,"",@progbits
; Kernel info:
; codeLenInByte = 536
; TotalNumSgprs: 12
; NumVgprs: 21
; ScratchSize: 0
; MemoryBound: 0
; FloatMode: 240
; IeeeMode: 1
; LDSByteSize: 0 bytes/workgroup (compile time only)
; SGPRBlocks: 1
; VGPRBlocks: 5
; NumSGPRsForWavesPerEU: 12
; NumVGPRsForWavesPerEU: 21
; Occupancy: 10
; WaveLimiterHint : 0
; COMPUTE_PGM_RSRC2:SCRATCH_EN: 0
; COMPUTE_PGM_RSRC2:USER_SGPR: 6
; COMPUTE_PGM_RSRC2:TRAP_HANDLER: 0
; COMPUTE_PGM_RSRC2:TGID_X_EN: 1
; COMPUTE_PGM_RSRC2:TGID_Y_EN: 0
; COMPUTE_PGM_RSRC2:TGID_Z_EN: 0
; COMPUTE_PGM_RSRC2:TIDIG_COMP_CNT: 0
	.section	.text._ZL22dequantize_block_iq3_sIfEvPKvPT_,"axG",@progbits,_ZL22dequantize_block_iq3_sIfEvPKvPT_,comdat
	.globl	_ZL22dequantize_block_iq3_sIfEvPKvPT_ ; -- Begin function _ZL22dequantize_block_iq3_sIfEvPKvPT_
	.p2align	8
	.type	_ZL22dequantize_block_iq3_sIfEvPKvPT_,@function
_ZL22dequantize_block_iq3_sIfEvPKvPT_:  ; @_ZL22dequantize_block_iq3_sIfEvPKvPT_
; %bb.0:
	s_load_dwordx4 s[0:3], s[4:5], 0x0
	s_mov_b32 s7, 0
	s_lshl_b64 s[4:5], s[6:7], 10
	v_and_b32_e32 v6, 7, v0
	v_lshlrev_b32_e32 v1, 3, v6
	s_waitcnt lgkmcnt(0)
	s_add_u32 s4, s2, s4
	s_addc_u32 s5, s3, s5
	s_mul_i32 s3, s6, 0x6e
	s_mul_hi_u32 s2, s6, 0x6e
	s_add_u32 s0, s0, s3
	s_addc_u32 s1, s1, s2
	v_mov_b32_e32 v2, s1
	v_add_co_u32_e32 v3, vcc, s0, v1
	v_addc_co_u32_e32 v4, vcc, 0, v2, vcc
	v_add_co_u32_e32 v1, vcc, s0, v6
	v_addc_co_u32_e32 v2, vcc, 0, v2, vcc
	v_lshrrev_b32_e32 v5, 3, v0
	v_mad_u64_u32 v[1:2], s[2:3], v6, 3, v[1:2]
	v_lshlrev_b32_e32 v7, 1, v5
	v_add_co_u32_e32 v3, vcc, v3, v7
	v_addc_co_u32_e32 v4, vcc, 0, v4, vcc
	v_add_co_u32_e32 v1, vcc, v1, v5
	v_bfe_u32 v8, v0, 1, 2
	v_addc_co_u32_e32 v2, vcc, 0, v2, vcc
	global_load_ushort v5, v[3:4], off offset:2
	global_load_ubyte v10, v8, s[0:1] offset:106
	global_load_sbyte v11, v[1:2], off offset:74
	global_load_ubyte v9, v6, s[0:1] offset:66
	v_mov_b32_e32 v1, 0
	global_load_ushort v1, v1, s[0:1]
	v_sub_u32_e32 v2, 8, v7
	s_movk_i32 s2, 0x100
	v_sub_u32_e32 v3, 7, v7
	s_getpc_b64 s[0:1]
	s_add_u32 s0, s0, _ZL9iq3s_grid@rel32@lo+4
	s_addc_u32 s1, s1, _ZL9iq3s_grid@rel32@hi+12
	s_waitcnt vmcnt(4)
	v_and_b32_e32 v4, 0xff, v5
	v_lshrrev_b16_e32 v5, 8, v5
	s_waitcnt vmcnt(2)
	v_and_b32_e32 v7, 4, v11
	s_waitcnt vmcnt(1)
	v_lshlrev_b32_e32 v2, v2, v9
	v_lshlrev_b32_e32 v3, v3, v9
	v_and_or_b32 v2, v2, s2, v4
	v_and_or_b32 v3, v3, s2, v5
	v_lshlrev_b32_e32 v2, 2, v2
	v_lshlrev_b32_e32 v3, 2, v3
	global_load_dword v4, v2, s[0:1]
	global_load_dword v5, v3, s[0:1]
	v_and_b32_e32 v2, 0x3f8, v0
	v_lshlrev_b32_e32 v0, 2, v0
	v_and_b32_e32 v0, 4, v0
	v_lshlrev_b32_e32 v3, 7, v6
	s_waitcnt vmcnt(2)
	v_cvt_f32_f16_e32 v1, v1
	v_lshrrev_b32_e32 v0, v0, v10
	v_mov_b32_e32 v6, s5
	v_add_co_u32_e32 v3, vcc, s4, v3
	v_lshlrev_b32_e32 v0, 1, v0
	v_lshlrev_b32_e32 v2, 2, v2
	v_addc_co_u32_e32 v6, vcc, 0, v6, vcc
	v_and_or_b32 v0, v0, 30, 1
	v_add_co_u32_e32 v8, vcc, v3, v2
	v_cvt_f32_ubyte0_e32 v0, v0
	v_addc_co_u32_e32 v9, vcc, 0, v6, vcc
	v_mul_f32_e32 v0, v1, v0
	v_and_b32_e32 v1, 1, v11
	v_and_b32_e32 v3, 2, v11
	v_cmp_eq_u16_e32 vcc, 0, v1
	v_and_b32_e32 v2, 16, v11
	v_and_b32_e32 v6, 32, v11
	;; [unrolled: 1-line block ×4, first 2 shown]
	s_waitcnt vmcnt(1)
	v_cvt_f32_ubyte0_e32 v13, v4
	s_waitcnt vmcnt(0)
	v_cvt_f32_ubyte0_e32 v14, v5
	v_cvt_f32_ubyte1_e32 v15, v4
	v_cvt_f32_ubyte1_e32 v16, v5
	v_cvt_f32_ubyte2_e32 v17, v4
	v_cvt_f32_ubyte2_e32 v18, v5
	v_cvt_f32_ubyte3_e32 v4, v4
	v_cvt_f32_ubyte3_e32 v5, v5
	v_mul_f32_e32 v13, v0, v13
	v_mul_f32_e32 v14, v0, v14
	;; [unrolled: 1-line block ×8, first 2 shown]
	v_cndmask_b32_e64 v0, -v13, v13, vcc
	v_cmp_eq_u16_e32 vcc, 0, v3
	v_cndmask_b32_e64 v1, -v15, v15, vcc
	v_cmp_eq_u16_e32 vcc, 0, v2
	;; [unrolled: 2-line block ×6, first 2 shown]
	v_cndmask_b32_e64 v3, -v19, v19, vcc
	v_cmp_gt_i16_e32 vcc, 0, v11
	v_cndmask_b32_e64 v7, v20, -v20, vcc
	global_store_dwordx4 v[8:9], v[0:3], off
	global_store_dwordx4 v[8:9], v[4:7], off offset:16
	s_endpgm
	.section	.rodata,"a",@progbits
	.p2align	6, 0x0
	.amdhsa_kernel _ZL22dequantize_block_iq3_sIfEvPKvPT_
		.amdhsa_group_segment_fixed_size 0
		.amdhsa_private_segment_fixed_size 0
		.amdhsa_kernarg_size 16
		.amdhsa_user_sgpr_count 6
		.amdhsa_user_sgpr_private_segment_buffer 1
		.amdhsa_user_sgpr_dispatch_ptr 0
		.amdhsa_user_sgpr_queue_ptr 0
		.amdhsa_user_sgpr_kernarg_segment_ptr 1
		.amdhsa_user_sgpr_dispatch_id 0
		.amdhsa_user_sgpr_flat_scratch_init 0
		.amdhsa_user_sgpr_private_segment_size 0
		.amdhsa_uses_dynamic_stack 0
		.amdhsa_system_sgpr_private_segment_wavefront_offset 0
		.amdhsa_system_sgpr_workgroup_id_x 1
		.amdhsa_system_sgpr_workgroup_id_y 0
		.amdhsa_system_sgpr_workgroup_id_z 0
		.amdhsa_system_sgpr_workgroup_info 0
		.amdhsa_system_vgpr_workitem_id 0
		.amdhsa_next_free_vgpr 21
		.amdhsa_next_free_sgpr 8
		.amdhsa_reserve_vcc 1
		.amdhsa_reserve_flat_scratch 0
		.amdhsa_float_round_mode_32 0
		.amdhsa_float_round_mode_16_64 0
		.amdhsa_float_denorm_mode_32 3
		.amdhsa_float_denorm_mode_16_64 3
		.amdhsa_dx10_clamp 1
		.amdhsa_ieee_mode 1
		.amdhsa_fp16_overflow 0
		.amdhsa_exception_fp_ieee_invalid_op 0
		.amdhsa_exception_fp_denorm_src 0
		.amdhsa_exception_fp_ieee_div_zero 0
		.amdhsa_exception_fp_ieee_overflow 0
		.amdhsa_exception_fp_ieee_underflow 0
		.amdhsa_exception_fp_ieee_inexact 0
		.amdhsa_exception_int_div_zero 0
	.end_amdhsa_kernel
	.section	.text._ZL22dequantize_block_iq3_sIfEvPKvPT_,"axG",@progbits,_ZL22dequantize_block_iq3_sIfEvPKvPT_,comdat
.Lfunc_end35:
	.size	_ZL22dequantize_block_iq3_sIfEvPKvPT_, .Lfunc_end35-_ZL22dequantize_block_iq3_sIfEvPKvPT_
                                        ; -- End function
	.set _ZL22dequantize_block_iq3_sIfEvPKvPT_.num_vgpr, 21
	.set _ZL22dequantize_block_iq3_sIfEvPKvPT_.num_agpr, 0
	.set _ZL22dequantize_block_iq3_sIfEvPKvPT_.numbered_sgpr, 8
	.set _ZL22dequantize_block_iq3_sIfEvPKvPT_.num_named_barrier, 0
	.set _ZL22dequantize_block_iq3_sIfEvPKvPT_.private_seg_size, 0
	.set _ZL22dequantize_block_iq3_sIfEvPKvPT_.uses_vcc, 1
	.set _ZL22dequantize_block_iq3_sIfEvPKvPT_.uses_flat_scratch, 0
	.set _ZL22dequantize_block_iq3_sIfEvPKvPT_.has_dyn_sized_stack, 0
	.set _ZL22dequantize_block_iq3_sIfEvPKvPT_.has_recursion, 0
	.set _ZL22dequantize_block_iq3_sIfEvPKvPT_.has_indirect_call, 0
	.section	.AMDGPU.csdata,"",@progbits
; Kernel info:
; codeLenInByte = 560
; TotalNumSgprs: 12
; NumVgprs: 21
; ScratchSize: 0
; MemoryBound: 0
; FloatMode: 240
; IeeeMode: 1
; LDSByteSize: 0 bytes/workgroup (compile time only)
; SGPRBlocks: 1
; VGPRBlocks: 5
; NumSGPRsForWavesPerEU: 12
; NumVGPRsForWavesPerEU: 21
; Occupancy: 10
; WaveLimiterHint : 0
; COMPUTE_PGM_RSRC2:SCRATCH_EN: 0
; COMPUTE_PGM_RSRC2:USER_SGPR: 6
; COMPUTE_PGM_RSRC2:TRAP_HANDLER: 0
; COMPUTE_PGM_RSRC2:TGID_X_EN: 1
; COMPUTE_PGM_RSRC2:TGID_Y_EN: 0
; COMPUTE_PGM_RSRC2:TGID_Z_EN: 0
; COMPUTE_PGM_RSRC2:TIDIG_COMP_CNT: 0
	.section	.text._ZL22dequantize_block_mxfp4IfEvPKvPT_,"axG",@progbits,_ZL22dequantize_block_mxfp4IfEvPKvPT_,comdat
	.globl	_ZL22dequantize_block_mxfp4IfEvPKvPT_ ; -- Begin function _ZL22dequantize_block_mxfp4IfEvPKvPT_
	.p2align	8
	.type	_ZL22dequantize_block_mxfp4IfEvPKvPT_,@function
_ZL22dequantize_block_mxfp4IfEvPKvPT_:  ; @_ZL22dequantize_block_mxfp4IfEvPKvPT_
; %bb.0:
	s_load_dwordx4 s[0:3], s[4:5], 0x0
	s_mul_i32 s5, s6, 0x88
	s_mul_hi_u32 s4, s6, 0x88
	v_and_b32_e32 v1, 7, v0
	v_lshrrev_b32_e32 v0, 1, v0
	s_waitcnt lgkmcnt(0)
	s_add_u32 s0, s0, s5
	s_addc_u32 s1, s1, s4
	v_mad_u64_u32 v[2:3], s[0:1], v1, 17, s[0:1]
	v_and_b32_e32 v0, 0x1fc, v0
	s_mov_b32 s7, 0
	v_add_co_u32_e32 v4, vcc, v2, v0
	v_addc_co_u32_e32 v5, vcc, 0, v3, vcc
	global_load_dword v6, v[4:5], off offset:1
	global_load_ubyte v7, v[2:3], off
	s_lshl_b64 s[0:1], s[6:7], 10
	s_add_u32 s2, s2, s0
	v_mov_b32_e32 v2, 4
	s_addc_u32 s3, s3, s1
	s_getpc_b64 s[0:1]
	s_add_u32 s0, s0, _ZL13kvalues_mxfp4@rel32@lo+4
	s_addc_u32 s1, s1, _ZL13kvalues_mxfp4@rel32@hi+12
	v_mov_b32_e32 v8, s1
	v_lshlrev_b32_e32 v1, 7, v1
	v_lshlrev_b32_e32 v0, 2, v0
	s_waitcnt vmcnt(1)
	v_lshrrev_b16_e32 v4, 4, v6
	v_lshrrev_b16_sdwa v2, v2, v6 dst_sel:DWORD dst_unused:UNUSED_PAD src0_sel:DWORD src1_sel:BYTE_3
	v_lshrrev_b32_e32 v3, 8, v6
	v_and_b32_e32 v4, 15, v4
	v_add_co_u32_e32 v2, vcc, s0, v2
	v_lshrrev_b16_e32 v5, 4, v3
	v_addc_co_u32_e32 v3, vcc, 0, v8, vcc
	v_and_b32_e32 v4, 0xffff, v4
	v_and_b32_e32 v9, 15, v6
	v_bfe_u32 v10, v6, 8, 4
	v_bfe_u32 v11, v6, 16, 4
	;; [unrolled: 1-line block ×4, first 2 shown]
	v_and_b32_e32 v6, 15, v5
	v_add_co_u32_e32 v4, vcc, s0, v4
	v_addc_co_u32_e32 v5, vcc, 0, v8, vcc
	v_and_b32_e32 v6, 0xffff, v6
	global_load_sbyte v14, v9, s[0:1]
	global_load_sbyte v15, v[4:5], off
	global_load_sbyte v16, v10, s[0:1]
	v_add_co_u32_e32 v4, vcc, s0, v6
	v_addc_co_u32_e32 v5, vcc, 0, v8, vcc
	global_load_sbyte v6, v[4:5], off
	global_load_sbyte v10, v11, s[0:1]
	global_load_sbyte v17, v12, s[0:1]
	;; [unrolled: 1-line block ×3, first 2 shown]
	global_load_sbyte v19, v[2:3], off
	v_mov_b32_e32 v3, s3
	v_add_co_u32_e32 v1, vcc, s2, v1
	v_addc_co_u32_e32 v3, vcc, 0, v3, vcc
	v_add_co_u32_e32 v8, vcc, v1, v0
	v_addc_co_u32_e32 v9, vcc, 0, v3, vcc
	v_mov_b32_e32 v2, 0x400000
	s_waitcnt vmcnt(8)
	v_lshlrev_b32_e32 v0, 23, v7
	v_cmp_ne_u32_e32 vcc, 0, v7
	v_cndmask_b32_e32 v2, v2, v0, vcc
	s_waitcnt vmcnt(7)
	v_cvt_f32_i32_e32 v1, v14
	s_waitcnt vmcnt(6)
	v_cvt_f32_i32_e32 v3, v15
	;; [unrolled: 2-line block ×8, first 2 shown]
	v_mul_f32_e32 v0, v2, v1
	v_mul_f32_e32 v1, v2, v3
	;; [unrolled: 1-line block ×3, first 2 shown]
	v_mul_f32_e32 v4, 0.5, v1
	v_mul_f32_e32 v1, 0.5, v3
	v_mul_f32_e32 v3, v2, v5
	v_mul_f32_e32 v6, v2, v6
	;; [unrolled: 1-line block ×3, first 2 shown]
	v_mul_f32_e32 v0, 0.5, v0
	v_mul_f32_e32 v7, v2, v7
	v_mul_f32_e32 v11, v2, v11
	v_mul_f32_e32 v5, 0.5, v3
	v_mul_f32_e32 v2, 0.5, v6
	;; [unrolled: 1-line block ×5, first 2 shown]
	global_store_dwordx4 v[8:9], v[0:3], off
	global_store_dwordx4 v[8:9], v[4:7], off offset:64
	s_endpgm
	.section	.rodata,"a",@progbits
	.p2align	6, 0x0
	.amdhsa_kernel _ZL22dequantize_block_mxfp4IfEvPKvPT_
		.amdhsa_group_segment_fixed_size 0
		.amdhsa_private_segment_fixed_size 0
		.amdhsa_kernarg_size 16
		.amdhsa_user_sgpr_count 6
		.amdhsa_user_sgpr_private_segment_buffer 1
		.amdhsa_user_sgpr_dispatch_ptr 0
		.amdhsa_user_sgpr_queue_ptr 0
		.amdhsa_user_sgpr_kernarg_segment_ptr 1
		.amdhsa_user_sgpr_dispatch_id 0
		.amdhsa_user_sgpr_flat_scratch_init 0
		.amdhsa_user_sgpr_private_segment_size 0
		.amdhsa_uses_dynamic_stack 0
		.amdhsa_system_sgpr_private_segment_wavefront_offset 0
		.amdhsa_system_sgpr_workgroup_id_x 1
		.amdhsa_system_sgpr_workgroup_id_y 0
		.amdhsa_system_sgpr_workgroup_id_z 0
		.amdhsa_system_sgpr_workgroup_info 0
		.amdhsa_system_vgpr_workitem_id 0
		.amdhsa_next_free_vgpr 20
		.amdhsa_next_free_sgpr 8
		.amdhsa_reserve_vcc 1
		.amdhsa_reserve_flat_scratch 0
		.amdhsa_float_round_mode_32 0
		.amdhsa_float_round_mode_16_64 0
		.amdhsa_float_denorm_mode_32 3
		.amdhsa_float_denorm_mode_16_64 3
		.amdhsa_dx10_clamp 1
		.amdhsa_ieee_mode 1
		.amdhsa_fp16_overflow 0
		.amdhsa_exception_fp_ieee_invalid_op 0
		.amdhsa_exception_fp_denorm_src 0
		.amdhsa_exception_fp_ieee_div_zero 0
		.amdhsa_exception_fp_ieee_overflow 0
		.amdhsa_exception_fp_ieee_underflow 0
		.amdhsa_exception_fp_ieee_inexact 0
		.amdhsa_exception_int_div_zero 0
	.end_amdhsa_kernel
	.section	.text._ZL22dequantize_block_mxfp4IfEvPKvPT_,"axG",@progbits,_ZL22dequantize_block_mxfp4IfEvPKvPT_,comdat
.Lfunc_end36:
	.size	_ZL22dequantize_block_mxfp4IfEvPKvPT_, .Lfunc_end36-_ZL22dequantize_block_mxfp4IfEvPKvPT_
                                        ; -- End function
	.set _ZL22dequantize_block_mxfp4IfEvPKvPT_.num_vgpr, 20
	.set _ZL22dequantize_block_mxfp4IfEvPKvPT_.num_agpr, 0
	.set _ZL22dequantize_block_mxfp4IfEvPKvPT_.numbered_sgpr, 8
	.set _ZL22dequantize_block_mxfp4IfEvPKvPT_.num_named_barrier, 0
	.set _ZL22dequantize_block_mxfp4IfEvPKvPT_.private_seg_size, 0
	.set _ZL22dequantize_block_mxfp4IfEvPKvPT_.uses_vcc, 1
	.set _ZL22dequantize_block_mxfp4IfEvPKvPT_.uses_flat_scratch, 0
	.set _ZL22dequantize_block_mxfp4IfEvPKvPT_.has_dyn_sized_stack, 0
	.set _ZL22dequantize_block_mxfp4IfEvPKvPT_.has_recursion, 0
	.set _ZL22dequantize_block_mxfp4IfEvPKvPT_.has_indirect_call, 0
	.section	.AMDGPU.csdata,"",@progbits
; Kernel info:
; codeLenInByte = 500
; TotalNumSgprs: 12
; NumVgprs: 20
; ScratchSize: 0
; MemoryBound: 0
; FloatMode: 240
; IeeeMode: 1
; LDSByteSize: 0 bytes/workgroup (compile time only)
; SGPRBlocks: 1
; VGPRBlocks: 4
; NumSGPRsForWavesPerEU: 12
; NumVGPRsForWavesPerEU: 20
; Occupancy: 10
; WaveLimiterHint : 0
; COMPUTE_PGM_RSRC2:SCRATCH_EN: 0
; COMPUTE_PGM_RSRC2:USER_SGPR: 6
; COMPUTE_PGM_RSRC2:TRAP_HANDLER: 0
; COMPUTE_PGM_RSRC2:TGID_X_EN: 1
; COMPUTE_PGM_RSRC2:TGID_Y_EN: 0
; COMPUTE_PGM_RSRC2:TGID_Z_EN: 0
; COMPUTE_PGM_RSRC2:TIDIG_COMP_CNT: 0
	.section	.text._ZL22dequantize_block_nvfp4IfEvPKvPT_l,"axG",@progbits,_ZL22dequantize_block_nvfp4IfEvPKvPT_l,comdat
	.globl	_ZL22dequantize_block_nvfp4IfEvPKvPT_l ; -- Begin function _ZL22dequantize_block_nvfp4IfEvPKvPT_l
	.p2align	8
	.type	_ZL22dequantize_block_nvfp4IfEvPKvPT_l,@function
_ZL22dequantize_block_nvfp4IfEvPKvPT_l: ; @_ZL22dequantize_block_nvfp4IfEvPKvPT_l
; %bb.0:
	s_load_dwordx2 s[2:3], s[4:5], 0x10
	s_mov_b32 s7, 0
	s_lshl_b64 s[0:1], s[6:7], 6
	s_waitcnt lgkmcnt(0)
	v_mov_b32_e32 v1, s2
	v_mov_b32_e32 v2, s3
	v_cmp_ge_i64_e32 vcc, s[0:1], v[1:2]
	s_cbranch_vccnz .LBB37_6
; %bb.1:
	s_load_dwordx2 s[2:3], s[4:5], 0x0
	s_mul_hi_u32 s7, s6, 36
	s_mul_i32 s6, s6, 36
	v_lshrrev_b32_e32 v1, 3, v0
	s_mov_b64 s[8:9], 0
	s_waitcnt lgkmcnt(0)
	s_add_u32 s6, s2, s6
	s_addc_u32 s7, s3, s7
	global_load_ubyte v3, v1, s[6:7]
	s_movk_i32 s2, 0x7e
	s_waitcnt vmcnt(0)
	v_cmp_lt_i16_e32 vcc, s2, v3
	s_and_saveexec_b64 s[2:3], vcc
	s_xor_b64 s[2:3], exec, s[2:3]
	s_cbranch_execnz .LBB37_7
; %bb.2:
	s_or_saveexec_b64 s[10:11], s[2:3]
	s_load_dwordx2 s[2:3], s[4:5], 0x8
	s_xor_b64 exec, exec, s[10:11]
	s_cbranch_execnz .LBB37_8
.LBB37_3:
	s_or_b64 exec, exec, s[10:11]
	v_mov_b32_e32 v2, 0
	s_and_saveexec_b64 s[4:5], s[8:9]
	s_cbranch_execz .LBB37_5
.LBB37_4:
	v_and_b32_e32 v2, 0xffff, v3
	v_bfe_u32 v3, v2, 3, 4
	v_and_b32_e32 v2, 7, v2
	v_cvt_f32_ubyte0_e32 v2, v2
	s_mov_b32 s8, 0x3e000000
	v_fma_f32 v4, v2, s8, 1.0
	v_add_u32_e32 v5, -7, v3
	v_cmp_eq_u32_e32 vcc, 0, v3
	v_cndmask_b32_e32 v2, v4, v2, vcc
	v_cndmask_b32_e64 v3, v5, -9, vcc
	v_ldexp_f32 v2, v2, v3
	v_mul_f32_e32 v2, 0.5, v2
.LBB37_5:
	s_or_b64 exec, exec, s[4:5]
	global_load_ubyte v3, v0, s[6:7] offset:4
	s_getpc_b64 s[4:5]
	s_add_u32 s4, s4, _ZL13kvalues_mxfp4@rel32@lo+4
	s_addc_u32 s5, s5, _ZL13kvalues_mxfp4@rel32@hi+12
	s_lshl_b64 s[0:1], s[0:1], 2
	s_waitcnt lgkmcnt(0)
	s_add_u32 s0, s2, s0
	v_lshlrev_b32_e32 v1, 6, v1
	s_addc_u32 s1, s3, s1
	v_and_b32_e32 v0, 7, v0
	v_add_co_u32_e32 v1, vcc, s0, v1
	v_lshlrev_b32_e32 v0, 2, v0
	s_waitcnt vmcnt(0)
	v_and_b32_e32 v4, 15, v3
	v_lshrrev_b32_e32 v3, 4, v3
	global_load_sbyte v5, v4, s[4:5]
	global_load_sbyte v6, v3, s[4:5]
	v_mov_b32_e32 v3, s1
	v_addc_co_u32_e32 v3, vcc, 0, v3, vcc
	v_add_co_u32_e32 v0, vcc, v1, v0
	v_addc_co_u32_e32 v1, vcc, 0, v3, vcc
	s_waitcnt vmcnt(1)
	v_cvt_f32_i32_e32 v4, v5
	s_waitcnt vmcnt(0)
	v_cvt_f32_i32_e32 v5, v6
	v_mul_f32_e32 v3, v2, v4
	v_mul_f32_e32 v2, v2, v5
	global_store_dword v[0:1], v3, off
	global_store_dword v[0:1], v2, off offset:32
.LBB37_6:
	s_endpgm
.LBB37_7:
	s_movk_i32 s8, 0x7f
	v_cmp_ne_u16_e32 vcc, s8, v3
	s_and_b64 s[8:9], vcc, exec
	s_or_saveexec_b64 s[10:11], s[2:3]
	s_load_dwordx2 s[2:3], s[4:5], 0x8
	s_xor_b64 exec, exec, s[10:11]
	s_cbranch_execz .LBB37_3
.LBB37_8:
	v_cmp_ne_u16_e32 vcc, 0, v3
	s_andn2_b64 s[4:5], s[8:9], exec
	s_and_b64 s[8:9], vcc, exec
	s_or_b64 s[8:9], s[4:5], s[8:9]
	s_or_b64 exec, exec, s[10:11]
	v_mov_b32_e32 v2, 0
	s_and_saveexec_b64 s[4:5], s[8:9]
	s_cbranch_execnz .LBB37_4
	s_branch .LBB37_5
	.section	.rodata,"a",@progbits
	.p2align	6, 0x0
	.amdhsa_kernel _ZL22dequantize_block_nvfp4IfEvPKvPT_l
		.amdhsa_group_segment_fixed_size 0
		.amdhsa_private_segment_fixed_size 0
		.amdhsa_kernarg_size 24
		.amdhsa_user_sgpr_count 6
		.amdhsa_user_sgpr_private_segment_buffer 1
		.amdhsa_user_sgpr_dispatch_ptr 0
		.amdhsa_user_sgpr_queue_ptr 0
		.amdhsa_user_sgpr_kernarg_segment_ptr 1
		.amdhsa_user_sgpr_dispatch_id 0
		.amdhsa_user_sgpr_flat_scratch_init 0
		.amdhsa_user_sgpr_private_segment_size 0
		.amdhsa_uses_dynamic_stack 0
		.amdhsa_system_sgpr_private_segment_wavefront_offset 0
		.amdhsa_system_sgpr_workgroup_id_x 1
		.amdhsa_system_sgpr_workgroup_id_y 0
		.amdhsa_system_sgpr_workgroup_id_z 0
		.amdhsa_system_sgpr_workgroup_info 0
		.amdhsa_system_vgpr_workitem_id 0
		.amdhsa_next_free_vgpr 7
		.amdhsa_next_free_sgpr 12
		.amdhsa_reserve_vcc 1
		.amdhsa_reserve_flat_scratch 0
		.amdhsa_float_round_mode_32 0
		.amdhsa_float_round_mode_16_64 0
		.amdhsa_float_denorm_mode_32 3
		.amdhsa_float_denorm_mode_16_64 3
		.amdhsa_dx10_clamp 1
		.amdhsa_ieee_mode 1
		.amdhsa_fp16_overflow 0
		.amdhsa_exception_fp_ieee_invalid_op 0
		.amdhsa_exception_fp_denorm_src 0
		.amdhsa_exception_fp_ieee_div_zero 0
		.amdhsa_exception_fp_ieee_overflow 0
		.amdhsa_exception_fp_ieee_underflow 0
		.amdhsa_exception_fp_ieee_inexact 0
		.amdhsa_exception_int_div_zero 0
	.end_amdhsa_kernel
	.section	.text._ZL22dequantize_block_nvfp4IfEvPKvPT_l,"axG",@progbits,_ZL22dequantize_block_nvfp4IfEvPKvPT_l,comdat
.Lfunc_end37:
	.size	_ZL22dequantize_block_nvfp4IfEvPKvPT_l, .Lfunc_end37-_ZL22dequantize_block_nvfp4IfEvPKvPT_l
                                        ; -- End function
	.set _ZL22dequantize_block_nvfp4IfEvPKvPT_l.num_vgpr, 7
	.set _ZL22dequantize_block_nvfp4IfEvPKvPT_l.num_agpr, 0
	.set _ZL22dequantize_block_nvfp4IfEvPKvPT_l.numbered_sgpr, 12
	.set _ZL22dequantize_block_nvfp4IfEvPKvPT_l.num_named_barrier, 0
	.set _ZL22dequantize_block_nvfp4IfEvPKvPT_l.private_seg_size, 0
	.set _ZL22dequantize_block_nvfp4IfEvPKvPT_l.uses_vcc, 1
	.set _ZL22dequantize_block_nvfp4IfEvPKvPT_l.uses_flat_scratch, 0
	.set _ZL22dequantize_block_nvfp4IfEvPKvPT_l.has_dyn_sized_stack, 0
	.set _ZL22dequantize_block_nvfp4IfEvPKvPT_l.has_recursion, 0
	.set _ZL22dequantize_block_nvfp4IfEvPKvPT_l.has_indirect_call, 0
	.section	.AMDGPU.csdata,"",@progbits
; Kernel info:
; codeLenInByte = 432
; TotalNumSgprs: 16
; NumVgprs: 7
; ScratchSize: 0
; MemoryBound: 0
; FloatMode: 240
; IeeeMode: 1
; LDSByteSize: 0 bytes/workgroup (compile time only)
; SGPRBlocks: 1
; VGPRBlocks: 1
; NumSGPRsForWavesPerEU: 16
; NumVGPRsForWavesPerEU: 7
; Occupancy: 10
; WaveLimiterHint : 0
; COMPUTE_PGM_RSRC2:SCRATCH_EN: 0
; COMPUTE_PGM_RSRC2:USER_SGPR: 6
; COMPUTE_PGM_RSRC2:TRAP_HANDLER: 0
; COMPUTE_PGM_RSRC2:TGID_X_EN: 1
; COMPUTE_PGM_RSRC2:TGID_Y_EN: 0
; COMPUTE_PGM_RSRC2:TGID_Z_EN: 0
; COMPUTE_PGM_RSRC2:TIDIG_COMP_CNT: 0
	.section	.text._ZL13convert_unaryIf6__halfEvPKvPT0_lll15HIP_vector_typeIjLj3EElll,"axG",@progbits,_ZL13convert_unaryIf6__halfEvPKvPT0_lll15HIP_vector_typeIjLj3EElll,comdat
	.globl	_ZL13convert_unaryIf6__halfEvPKvPT0_lll15HIP_vector_typeIjLj3EElll ; -- Begin function _ZL13convert_unaryIf6__halfEvPKvPT0_lll15HIP_vector_typeIjLj3EElll
	.p2align	8
	.type	_ZL13convert_unaryIf6__halfEvPKvPT0_lll15HIP_vector_typeIjLj3EElll,@function
_ZL13convert_unaryIf6__halfEvPKvPT0_lll15HIP_vector_typeIjLj3EElll: ; @_ZL13convert_unaryIf6__halfEvPKvPT0_lll15HIP_vector_typeIjLj3EElll
; %bb.0:
	s_mov_b32 s10, s7
	s_load_dword s7, s[4:5], 0x5c
	s_load_dwordx4 s[0:3], s[4:5], 0x10
	s_add_u32 s24, s4, 0x50
	s_addc_u32 s25, s5, 0
	v_mov_b32_e32 v1, 0
	s_waitcnt lgkmcnt(0)
	s_and_b32 s7, s7, 0xffff
	v_mov_b32_e32 v2, s6
	v_mad_u64_u32 v[2:3], s[6:7], s7, v2, v[0:1]
	v_cmp_gt_i64_e32 vcc, s[0:1], v[2:3]
	s_and_saveexec_b64 s[6:7], vcc
	s_cbranch_execz .LBB38_7
; %bb.1:
	s_load_dwordx2 s[26:27], s[4:5], 0x20
	s_mov_b32 s11, 0
	v_mov_b32_e32 v0, s10
	v_mov_b32_e32 v1, s11
	v_cmp_le_i64_e32 vcc, s[2:3], v[0:1]
	s_cbranch_vccnz .LBB38_7
; %bb.2:
	s_load_dwordx4 s[20:23], s[4:5], 0x0
	s_load_dwordx8 s[12:19], s[4:5], 0x28
	s_load_dwordx2 s[6:7], s[4:5], 0x48
	s_mul_i32 s4, s3, s8
	s_mul_hi_u32 s5, s2, s8
	s_add_i32 s5, s5, s4
	s_mul_i32 s4, s2, s8
	s_add_u32 s4, s4, s10
	s_addc_u32 s5, s5, 0
	s_mul_i32 s5, s0, s5
	s_waitcnt lgkmcnt(0)
	s_mul_hi_u32 s15, s0, s4
	s_add_i32 s5, s15, s5
	s_mul_i32 s15, s1, s4
	s_add_i32 s5, s5, s15
	s_mul_i32 s4, s0, s4
	s_load_dword s28, s[24:25], 0x4
	s_lshl_b64 s[4:5], s[4:5], 1
	v_lshlrev_b64 v[0:1], 1, v[2:3]
	s_add_u32 s4, s22, s4
	s_addc_u32 s5, s23, s5
	s_mov_b32 s9, s11
	v_mov_b32_e32 v4, s8
	v_mov_b32_e32 v6, s5
	v_add_co_u32_e32 v0, vcc, s4, v0
	v_mov_b32_e32 v5, s9
	v_addc_co_u32_e32 v1, vcc, v6, v1, vcc
	s_waitcnt lgkmcnt(0)
	s_mul_i32 s4, s1, s28
	s_mul_i32 s1, s2, s1
	s_mul_hi_u32 s15, s2, s0
	v_cmp_gt_i64_e32 vcc, s[26:27], v[4:5]
	s_mul_hi_u32 s5, s0, s28
	s_add_i32 s1, s15, s1
	s_mul_i32 s15, s3, s0
	s_add_i32 s5, s5, s4
	s_mul_i32 s4, s0, s28
	;; [unrolled: 2-line block ×3, first 2 shown]
	v_cndmask_b32_e64 v4, 0, 1, vcc
	s_lshl_b64 s[4:5], s[4:5], 1
	s_lshl_b64 s[22:23], s[0:1], 1
	v_cmp_ne_u32_e64 s[0:1], 1, v4
	v_lshlrev_b64 v[2:3], 2, v[2:3]
	v_mov_b32_e32 v5, s3
	v_mov_b32_e32 v6, s26
	s_sub_i32 s29, 0, s14
	v_mov_b32_e32 v10, s5
	v_mov_b32_e32 v4, s2
	;; [unrolled: 1-line block ×3, first 2 shown]
	s_branch .LBB38_4
.LBB38_3:                               ;   in Loop: Header=BB38_4 Depth=1
	s_add_u32 s10, s10, s28
	s_addc_u32 s11, s11, 0
	v_cmp_ge_i64_e32 vcc, s[10:11], v[4:5]
	v_add_co_u32_e64 v0, s[2:3], s4, v0
	v_addc_co_u32_e64 v1, s[2:3], v1, v10, s[2:3]
	s_cbranch_vccnz .LBB38_7
.LBB38_4:                               ; =>This Loop Header: Depth=1
                                        ;     Child Loop BB38_6 Depth 2
	s_and_b64 vcc, exec, s[0:1]
	s_cbranch_vccnz .LBB38_3
; %bb.5:                                ;   in Loop: Header=BB38_4 Depth=1
	s_load_dword s5, s[24:25], 0x8
	s_mul_i32 s2, s10, s17
	s_mul_hi_u32 s3, s10, s16
	s_add_i32 s2, s3, s2
	s_mul_i32 s3, s11, s16
	s_waitcnt lgkmcnt(0)
	s_mul_i32 s14, s23, s5
	s_mul_hi_u32 s15, s22, s5
	s_add_i32 s3, s2, s3
	s_mul_i32 s2, s10, s16
	s_add_i32 s26, s15, s14
	v_mov_b32_e32 v9, v1
	s_mul_i32 s30, s22, s5
	s_lshl_b64 s[14:15], s[2:3], 2
	v_mov_b32_e32 v11, s26
	v_mov_b32_e32 v8, v0
	s_mov_b64 s[26:27], s[8:9]
.LBB38_6:                               ;   Parent Loop BB38_4 Depth=1
                                        ; =>  This Inner Loop Header: Depth=2
	s_mul_hi_u32 s2, s12, s26
	s_add_i32 s2, s26, s2
	s_lshr_b32 s2, s2, s13
	s_mul_i32 s3, s29, s2
	s_mul_i32 s31, s7, s2
	s_mul_hi_u32 s33, s6, s2
	s_add_i32 s34, s26, s3
	s_mul_i32 s2, s6, s2
	s_add_i32 s3, s33, s31
	s_mul_i32 s31, s19, s34
	s_mul_hi_u32 s33, s18, s34
	s_lshl_b64 s[2:3], s[2:3], 2
	s_add_i32 s35, s33, s31
	s_mul_i32 s34, s18, s34
	s_add_u32 s31, s20, s2
	s_addc_u32 s33, s21, s3
	s_lshl_b64 s[2:3], s[34:35], 2
	s_add_u32 s2, s31, s2
	s_addc_u32 s3, s33, s3
	s_add_u32 s2, s2, s14
	s_addc_u32 s3, s3, s15
	v_mov_b32_e32 v13, s3
	v_add_co_u32_e32 v12, vcc, s2, v2
	v_addc_co_u32_e32 v13, vcc, v13, v3, vcc
	global_load_dword v12, v[12:13], off
	s_add_u32 s26, s26, s5
	s_addc_u32 s27, s27, 0
	v_cmp_ge_i64_e32 vcc, s[26:27], v[6:7]
	s_and_b64 vcc, exec, vcc
	s_waitcnt vmcnt(0)
	v_cvt_f16_f32_e32 v12, v12
	global_store_short v[8:9], v12, off
	v_add_co_u32_e64 v8, s[2:3], s30, v8
	v_addc_co_u32_e64 v9, s[2:3], v9, v11, s[2:3]
	s_cbranch_vccz .LBB38_6
	s_branch .LBB38_3
.LBB38_7:
	s_endpgm
	.section	.rodata,"a",@progbits
	.p2align	6, 0x0
	.amdhsa_kernel _ZL13convert_unaryIf6__halfEvPKvPT0_lll15HIP_vector_typeIjLj3EElll
		.amdhsa_group_segment_fixed_size 0
		.amdhsa_private_segment_fixed_size 0
		.amdhsa_kernarg_size 336
		.amdhsa_user_sgpr_count 6
		.amdhsa_user_sgpr_private_segment_buffer 1
		.amdhsa_user_sgpr_dispatch_ptr 0
		.amdhsa_user_sgpr_queue_ptr 0
		.amdhsa_user_sgpr_kernarg_segment_ptr 1
		.amdhsa_user_sgpr_dispatch_id 0
		.amdhsa_user_sgpr_flat_scratch_init 0
		.amdhsa_user_sgpr_private_segment_size 0
		.amdhsa_uses_dynamic_stack 0
		.amdhsa_system_sgpr_private_segment_wavefront_offset 0
		.amdhsa_system_sgpr_workgroup_id_x 1
		.amdhsa_system_sgpr_workgroup_id_y 1
		.amdhsa_system_sgpr_workgroup_id_z 1
		.amdhsa_system_sgpr_workgroup_info 0
		.amdhsa_system_vgpr_workitem_id 0
		.amdhsa_next_free_vgpr 14
		.amdhsa_next_free_sgpr 36
		.amdhsa_reserve_vcc 1
		.amdhsa_reserve_flat_scratch 0
		.amdhsa_float_round_mode_32 0
		.amdhsa_float_round_mode_16_64 0
		.amdhsa_float_denorm_mode_32 3
		.amdhsa_float_denorm_mode_16_64 3
		.amdhsa_dx10_clamp 1
		.amdhsa_ieee_mode 1
		.amdhsa_fp16_overflow 0
		.amdhsa_exception_fp_ieee_invalid_op 0
		.amdhsa_exception_fp_denorm_src 0
		.amdhsa_exception_fp_ieee_div_zero 0
		.amdhsa_exception_fp_ieee_overflow 0
		.amdhsa_exception_fp_ieee_underflow 0
		.amdhsa_exception_fp_ieee_inexact 0
		.amdhsa_exception_int_div_zero 0
	.end_amdhsa_kernel
	.section	.text._ZL13convert_unaryIf6__halfEvPKvPT0_lll15HIP_vector_typeIjLj3EElll,"axG",@progbits,_ZL13convert_unaryIf6__halfEvPKvPT0_lll15HIP_vector_typeIjLj3EElll,comdat
.Lfunc_end38:
	.size	_ZL13convert_unaryIf6__halfEvPKvPT0_lll15HIP_vector_typeIjLj3EElll, .Lfunc_end38-_ZL13convert_unaryIf6__halfEvPKvPT0_lll15HIP_vector_typeIjLj3EElll
                                        ; -- End function
	.set _ZL13convert_unaryIf6__halfEvPKvPT0_lll15HIP_vector_typeIjLj3EElll.num_vgpr, 14
	.set _ZL13convert_unaryIf6__halfEvPKvPT0_lll15HIP_vector_typeIjLj3EElll.num_agpr, 0
	.set _ZL13convert_unaryIf6__halfEvPKvPT0_lll15HIP_vector_typeIjLj3EElll.numbered_sgpr, 36
	.set _ZL13convert_unaryIf6__halfEvPKvPT0_lll15HIP_vector_typeIjLj3EElll.num_named_barrier, 0
	.set _ZL13convert_unaryIf6__halfEvPKvPT0_lll15HIP_vector_typeIjLj3EElll.private_seg_size, 0
	.set _ZL13convert_unaryIf6__halfEvPKvPT0_lll15HIP_vector_typeIjLj3EElll.uses_vcc, 1
	.set _ZL13convert_unaryIf6__halfEvPKvPT0_lll15HIP_vector_typeIjLj3EElll.uses_flat_scratch, 0
	.set _ZL13convert_unaryIf6__halfEvPKvPT0_lll15HIP_vector_typeIjLj3EElll.has_dyn_sized_stack, 0
	.set _ZL13convert_unaryIf6__halfEvPKvPT0_lll15HIP_vector_typeIjLj3EElll.has_recursion, 0
	.set _ZL13convert_unaryIf6__halfEvPKvPT0_lll15HIP_vector_typeIjLj3EElll.has_indirect_call, 0
	.section	.AMDGPU.csdata,"",@progbits
; Kernel info:
; codeLenInByte = 612
; TotalNumSgprs: 40
; NumVgprs: 14
; ScratchSize: 0
; MemoryBound: 0
; FloatMode: 240
; IeeeMode: 1
; LDSByteSize: 0 bytes/workgroup (compile time only)
; SGPRBlocks: 4
; VGPRBlocks: 3
; NumSGPRsForWavesPerEU: 40
; NumVGPRsForWavesPerEU: 14
; Occupancy: 10
; WaveLimiterHint : 0
; COMPUTE_PGM_RSRC2:SCRATCH_EN: 0
; COMPUTE_PGM_RSRC2:USER_SGPR: 6
; COMPUTE_PGM_RSRC2:TRAP_HANDLER: 0
; COMPUTE_PGM_RSRC2:TGID_X_EN: 1
; COMPUTE_PGM_RSRC2:TGID_Y_EN: 1
; COMPUTE_PGM_RSRC2:TGID_Z_EN: 1
; COMPUTE_PGM_RSRC2:TIDIG_COMP_CNT: 0
	.section	.text._ZL16dequantize_blockILi128ELi1EXadL_ZL15dequantize_q1_0PKvliR15HIP_vector_typeIfLj2EEEE6__halfEvS1_PT2_lllS2_IjLj3EElll,"axG",@progbits,_ZL16dequantize_blockILi128ELi1EXadL_ZL15dequantize_q1_0PKvliR15HIP_vector_typeIfLj2EEEE6__halfEvS1_PT2_lllS2_IjLj3EElll,comdat
	.globl	_ZL16dequantize_blockILi128ELi1EXadL_ZL15dequantize_q1_0PKvliR15HIP_vector_typeIfLj2EEEE6__halfEvS1_PT2_lllS2_IjLj3EElll ; -- Begin function _ZL16dequantize_blockILi128ELi1EXadL_ZL15dequantize_q1_0PKvliR15HIP_vector_typeIfLj2EEEE6__halfEvS1_PT2_lllS2_IjLj3EElll
	.p2align	8
	.type	_ZL16dequantize_blockILi128ELi1EXadL_ZL15dequantize_q1_0PKvliR15HIP_vector_typeIfLj2EEEE6__halfEvS1_PT2_lllS2_IjLj3EElll,@function
_ZL16dequantize_blockILi128ELi1EXadL_ZL15dequantize_q1_0PKvliR15HIP_vector_typeIfLj2EEEE6__halfEvS1_PT2_lllS2_IjLj3EElll: ; @_ZL16dequantize_blockILi128ELi1EXadL_ZL15dequantize_q1_0PKvliR15HIP_vector_typeIfLj2EEEE6__halfEvS1_PT2_lllS2_IjLj3EElll
; %bb.0:
	s_mov_b32 s10, s7
	s_load_dword s7, s[4:5], 0x5c
	s_add_u32 s24, s4, 0x50
	s_addc_u32 s25, s5, 0
	v_mov_b32_e32 v1, 0
	v_mov_b32_e32 v2, s6
	s_waitcnt lgkmcnt(0)
	s_and_b32 s0, s7, 0xffff
	v_mad_u64_u32 v[1:2], s[0:1], s0, v2, v[0:1]
	s_load_dwordx4 s[0:3], s[4:5], 0x10
	v_lshlrev_b64 v[3:4], 1, v[1:2]
	s_waitcnt lgkmcnt(0)
	v_cmp_gt_i64_e32 vcc, s[0:1], v[3:4]
	s_and_saveexec_b64 s[12:13], vcc
	s_cbranch_execz .LBB39_7
; %bb.1:
	s_load_dwordx2 s[26:27], s[4:5], 0x20
	s_mov_b32 s11, 0
	v_mov_b32_e32 v4, s10
	v_mov_b32_e32 v5, s11
	v_cmp_le_i64_e32 vcc, s[2:3], v[4:5]
	s_cbranch_vccnz .LBB39_7
; %bb.2:
	s_load_dwordx4 s[20:23], s[4:5], 0x0
	s_load_dwordx8 s[12:19], s[4:5], 0x28
	s_load_dwordx2 s[28:29], s[4:5], 0x48
	s_mul_i32 s4, s3, s8
	s_mul_hi_u32 s5, s2, s8
	s_add_i32 s5, s5, s4
	s_mul_i32 s4, s2, s8
	s_add_u32 s4, s4, s10
	s_addc_u32 s5, s5, 0
	v_lshrrev_b64 v[1:2], 6, v[1:2]
	s_mul_i32 s5, s0, s5
	s_waitcnt lgkmcnt(0)
	s_mul_hi_u32 s15, s0, s4
	s_add_i32 s5, s15, s5
	s_mul_i32 s15, s1, s4
	v_bfe_u32 v9, v3, 3, 4
	v_and_b32_e32 v10, 6, v3
	s_add_i32 s5, s5, s15
	s_mul_i32 s4, s0, s4
	v_lshlrev_b64 v[3:4], 8, v[1:2]
	s_mul_i32 s6, s6, s7
	s_lshl_b64 s[4:5], s[4:5], 1
	v_add_u16_e32 v0, s6, v0
	v_mov_b32_e32 v7, s5
	v_add_co_u32_e32 v3, vcc, s4, v3
	v_and_b32_e32 v0, 63, v0
	v_addc_co_u32_e32 v4, vcc, v7, v4, vcc
	v_lshlrev_b32_e32 v0, 2, v0
	v_add_co_u32_e32 v0, vcc, v3, v0
	s_load_dword s30, s[24:25], 0x4
	v_addc_co_u32_e32 v3, vcc, 0, v4, vcc
	v_mov_b32_e32 v4, s23
	v_add_co_u32_e32 v0, vcc, s22, v0
	v_addc_co_u32_e32 v4, vcc, v4, v3, vcc
	s_mov_b32 s9, s11
	v_mov_b32_e32 v5, s8
	v_add_co_u32_e32 v3, vcc, 2, v0
	v_mov_b32_e32 v6, s9
	v_addc_co_u32_e32 v4, vcc, 0, v4, vcc
	s_waitcnt lgkmcnt(0)
	s_mul_i32 s4, s1, s30
	s_mul_hi_u32 s5, s0, s30
	s_mul_i32 s1, s2, s1
	s_mul_hi_u32 s6, s2, s0
	v_cmp_gt_i64_e32 vcc, s[26:27], v[5:6]
	s_add_i32 s5, s5, s4
	s_mul_i32 s4, s0, s30
	s_add_i32 s1, s6, s1
	s_mul_i32 s6, s3, s0
	s_lshl_b64 s[4:5], s[4:5], 1
	s_add_i32 s1, s1, s6
	s_mul_i32 s0, s2, s0
	v_cndmask_b32_e64 v0, 0, 1, vcc
	v_mov_b32_e32 v6, s3
	v_or_b32_e32 v11, 1, v10
	s_lshl_b64 s[6:7], s[0:1], 1
	s_sub_i32 s22, 0, s14
	v_cmp_ne_u32_e64 s[0:1], 1, v0
	v_mov_b32_e32 v0, s5
	v_mov_b32_e32 v5, s2
	s_branch .LBB39_4
.LBB39_3:                               ;   in Loop: Header=BB39_4 Depth=1
	s_add_u32 s10, s10, s30
	s_addc_u32 s11, s11, 0
	v_cmp_ge_i64_e32 vcc, s[10:11], v[5:6]
	v_add_co_u32_e64 v3, s[2:3], s4, v3
	v_addc_co_u32_e64 v4, s[2:3], v4, v0, s[2:3]
	s_cbranch_vccnz .LBB39_7
.LBB39_4:                               ; =>This Loop Header: Depth=1
                                        ;     Child Loop BB39_6 Depth 2
	s_and_b64 vcc, exec, s[0:1]
	s_cbranch_vccnz .LBB39_3
; %bb.5:                                ;   in Loop: Header=BB39_4 Depth=1
	s_load_dword s5, s[24:25], 0x8
	s_mul_i32 s2, s10, s17
	s_mul_hi_u32 s3, s10, s16
	s_add_i32 s2, s3, s2
	s_mul_i32 s3, s11, s16
	s_add_i32 s2, s2, s3
	s_mul_i32 s3, s10, s16
	s_waitcnt lgkmcnt(0)
	s_mul_i32 s14, s7, s5
	s_mul_hi_u32 s15, s6, s5
	s_mul_i32 s2, s2, 18
	s_mul_hi_u32 s33, s3, 18
	v_mov_b32_e32 v8, v4
	s_add_i32 s23, s15, s14
	s_mul_i32 s31, s6, s5
	s_add_i32 s33, s33, s2
	s_mul_i32 s34, s3, 18
	v_mov_b32_e32 v7, v3
	s_mov_b64 s[14:15], s[8:9]
.LBB39_6:                               ;   Parent Loop BB39_4 Depth=1
                                        ; =>  This Inner Loop Header: Depth=2
	s_mul_hi_u32 s2, s12, s14
	s_add_i32 s2, s14, s2
	s_lshr_b32 s2, s2, s13
	s_mul_i32 s3, s22, s2
	s_mul_i32 s35, s29, s2
	s_mul_hi_u32 s36, s28, s2
	s_mul_i32 s2, s28, s2
	s_add_i32 s3, s14, s3
	s_add_i32 s35, s36, s35
	s_mul_hi_u32 s36, s2, 18
	s_mul_i32 s37, s19, s3
	s_mul_hi_u32 s38, s18, s3
	s_mul_i32 s35, s35, 18
	s_mul_i32 s2, s2, 18
	;; [unrolled: 1-line block ×3, first 2 shown]
	s_add_i32 s37, s38, s37
	s_add_i32 s36, s36, s35
	s_mul_hi_u32 s35, s3, 18
	s_add_u32 s2, s20, s2
	s_mul_i32 s37, s37, 18
	s_mul_i32 s3, s3, 18
	s_addc_u32 s36, s21, s36
	s_add_i32 s35, s35, s37
	s_add_u32 s2, s2, s3
	s_addc_u32 s3, s36, s35
	s_add_u32 s2, s2, s34
	s_addc_u32 s3, s3, s33
	v_mad_u64_u32 v[12:13], s[2:3], v1, 18, s[2:3]
	s_add_u32 s14, s14, s5
	s_addc_u32 s15, s15, 0
	v_mad_u64_u32 v[14:15], s[2:3], v2, 18, v[13:14]
	v_add_co_u32_e32 v15, vcc, v12, v9
	v_addc_co_u32_e32 v16, vcc, 0, v14, vcc
	v_mov_b32_e32 v13, v14
	global_load_ubyte v14, v[15:16], off offset:2
	global_load_ushort v17, v[12:13], off
	v_mov_b32_e32 v12, s26
	v_mov_b32_e32 v13, s27
	v_cmp_ge_i64_e32 vcc, s[14:15], v[12:13]
	v_mov_b32_e32 v15, s23
	s_and_b64 vcc, exec, vcc
	s_waitcnt vmcnt(1)
	v_lshrrev_b32_e32 v12, v10, v14
	v_lshrrev_b32_e32 v13, v11, v14
	v_lshlrev_b32_e32 v12, 1, v12
	v_lshlrev_b32_e32 v13, 1, v13
	v_and_b32_e32 v12, 2, v12
	v_and_b32_e32 v13, 2, v13
	v_add_u32_e32 v12, -1, v12
	v_add_u32_e32 v13, -1, v13
	v_cvt_f32_i32_e32 v12, v12
	v_cvt_f32_i32_e32 v13, v13
	s_waitcnt vmcnt(0)
	v_fma_mixlo_f16 v12, v17, v12, 0 op_sel_hi:[1,0,0]
	v_fma_mixhi_f16 v12, v17, v13, 0 op_sel_hi:[1,0,0]
	global_store_dword v[7:8], v12, off offset:-2
	v_add_co_u32_e64 v7, s[2:3], s31, v7
	v_addc_co_u32_e64 v8, s[2:3], v8, v15, s[2:3]
	s_cbranch_vccz .LBB39_6
	s_branch .LBB39_3
.LBB39_7:
	s_endpgm
	.section	.rodata,"a",@progbits
	.p2align	6, 0x0
	.amdhsa_kernel _ZL16dequantize_blockILi128ELi1EXadL_ZL15dequantize_q1_0PKvliR15HIP_vector_typeIfLj2EEEE6__halfEvS1_PT2_lllS2_IjLj3EElll
		.amdhsa_group_segment_fixed_size 0
		.amdhsa_private_segment_fixed_size 0
		.amdhsa_kernarg_size 336
		.amdhsa_user_sgpr_count 6
		.amdhsa_user_sgpr_private_segment_buffer 1
		.amdhsa_user_sgpr_dispatch_ptr 0
		.amdhsa_user_sgpr_queue_ptr 0
		.amdhsa_user_sgpr_kernarg_segment_ptr 1
		.amdhsa_user_sgpr_dispatch_id 0
		.amdhsa_user_sgpr_flat_scratch_init 0
		.amdhsa_user_sgpr_private_segment_size 0
		.amdhsa_uses_dynamic_stack 0
		.amdhsa_system_sgpr_private_segment_wavefront_offset 0
		.amdhsa_system_sgpr_workgroup_id_x 1
		.amdhsa_system_sgpr_workgroup_id_y 1
		.amdhsa_system_sgpr_workgroup_id_z 1
		.amdhsa_system_sgpr_workgroup_info 0
		.amdhsa_system_vgpr_workitem_id 0
		.amdhsa_next_free_vgpr 18
		.amdhsa_next_free_sgpr 39
		.amdhsa_reserve_vcc 1
		.amdhsa_reserve_flat_scratch 0
		.amdhsa_float_round_mode_32 0
		.amdhsa_float_round_mode_16_64 0
		.amdhsa_float_denorm_mode_32 3
		.amdhsa_float_denorm_mode_16_64 3
		.amdhsa_dx10_clamp 1
		.amdhsa_ieee_mode 1
		.amdhsa_fp16_overflow 0
		.amdhsa_exception_fp_ieee_invalid_op 0
		.amdhsa_exception_fp_denorm_src 0
		.amdhsa_exception_fp_ieee_div_zero 0
		.amdhsa_exception_fp_ieee_overflow 0
		.amdhsa_exception_fp_ieee_underflow 0
		.amdhsa_exception_fp_ieee_inexact 0
		.amdhsa_exception_int_div_zero 0
	.end_amdhsa_kernel
	.section	.text._ZL16dequantize_blockILi128ELi1EXadL_ZL15dequantize_q1_0PKvliR15HIP_vector_typeIfLj2EEEE6__halfEvS1_PT2_lllS2_IjLj3EElll,"axG",@progbits,_ZL16dequantize_blockILi128ELi1EXadL_ZL15dequantize_q1_0PKvliR15HIP_vector_typeIfLj2EEEE6__halfEvS1_PT2_lllS2_IjLj3EElll,comdat
.Lfunc_end39:
	.size	_ZL16dequantize_blockILi128ELi1EXadL_ZL15dequantize_q1_0PKvliR15HIP_vector_typeIfLj2EEEE6__halfEvS1_PT2_lllS2_IjLj3EElll, .Lfunc_end39-_ZL16dequantize_blockILi128ELi1EXadL_ZL15dequantize_q1_0PKvliR15HIP_vector_typeIfLj2EEEE6__halfEvS1_PT2_lllS2_IjLj3EElll
                                        ; -- End function
	.set _ZL16dequantize_blockILi128ELi1EXadL_ZL15dequantize_q1_0PKvliR15HIP_vector_typeIfLj2EEEE6__halfEvS1_PT2_lllS2_IjLj3EElll.num_vgpr, 18
	.set _ZL16dequantize_blockILi128ELi1EXadL_ZL15dequantize_q1_0PKvliR15HIP_vector_typeIfLj2EEEE6__halfEvS1_PT2_lllS2_IjLj3EElll.num_agpr, 0
	.set _ZL16dequantize_blockILi128ELi1EXadL_ZL15dequantize_q1_0PKvliR15HIP_vector_typeIfLj2EEEE6__halfEvS1_PT2_lllS2_IjLj3EElll.numbered_sgpr, 39
	.set _ZL16dequantize_blockILi128ELi1EXadL_ZL15dequantize_q1_0PKvliR15HIP_vector_typeIfLj2EEEE6__halfEvS1_PT2_lllS2_IjLj3EElll.num_named_barrier, 0
	.set _ZL16dequantize_blockILi128ELi1EXadL_ZL15dequantize_q1_0PKvliR15HIP_vector_typeIfLj2EEEE6__halfEvS1_PT2_lllS2_IjLj3EElll.private_seg_size, 0
	.set _ZL16dequantize_blockILi128ELi1EXadL_ZL15dequantize_q1_0PKvliR15HIP_vector_typeIfLj2EEEE6__halfEvS1_PT2_lllS2_IjLj3EElll.uses_vcc, 1
	.set _ZL16dequantize_blockILi128ELi1EXadL_ZL15dequantize_q1_0PKvliR15HIP_vector_typeIfLj2EEEE6__halfEvS1_PT2_lllS2_IjLj3EElll.uses_flat_scratch, 0
	.set _ZL16dequantize_blockILi128ELi1EXadL_ZL15dequantize_q1_0PKvliR15HIP_vector_typeIfLj2EEEE6__halfEvS1_PT2_lllS2_IjLj3EElll.has_dyn_sized_stack, 0
	.set _ZL16dequantize_blockILi128ELi1EXadL_ZL15dequantize_q1_0PKvliR15HIP_vector_typeIfLj2EEEE6__halfEvS1_PT2_lllS2_IjLj3EElll.has_recursion, 0
	.set _ZL16dequantize_blockILi128ELi1EXadL_ZL15dequantize_q1_0PKvliR15HIP_vector_typeIfLj2EEEE6__halfEvS1_PT2_lllS2_IjLj3EElll.has_indirect_call, 0
	.section	.AMDGPU.csdata,"",@progbits
; Kernel info:
; codeLenInByte = 792
; TotalNumSgprs: 43
; NumVgprs: 18
; ScratchSize: 0
; MemoryBound: 0
; FloatMode: 240
; IeeeMode: 1
; LDSByteSize: 0 bytes/workgroup (compile time only)
; SGPRBlocks: 5
; VGPRBlocks: 4
; NumSGPRsForWavesPerEU: 43
; NumVGPRsForWavesPerEU: 18
; Occupancy: 10
; WaveLimiterHint : 0
; COMPUTE_PGM_RSRC2:SCRATCH_EN: 0
; COMPUTE_PGM_RSRC2:USER_SGPR: 6
; COMPUTE_PGM_RSRC2:TRAP_HANDLER: 0
; COMPUTE_PGM_RSRC2:TGID_X_EN: 1
; COMPUTE_PGM_RSRC2:TGID_Y_EN: 1
; COMPUTE_PGM_RSRC2:TGID_Z_EN: 1
; COMPUTE_PGM_RSRC2:TIDIG_COMP_CNT: 0
	.section	.text._ZL16dequantize_blockILi32ELi2EXadL_ZL15dequantize_q4_0PKvliR15HIP_vector_typeIfLj2EEEE6__halfEvS1_PT2_lllS2_IjLj3EElll,"axG",@progbits,_ZL16dequantize_blockILi32ELi2EXadL_ZL15dequantize_q4_0PKvliR15HIP_vector_typeIfLj2EEEE6__halfEvS1_PT2_lllS2_IjLj3EElll,comdat
	.globl	_ZL16dequantize_blockILi32ELi2EXadL_ZL15dequantize_q4_0PKvliR15HIP_vector_typeIfLj2EEEE6__halfEvS1_PT2_lllS2_IjLj3EElll ; -- Begin function _ZL16dequantize_blockILi32ELi2EXadL_ZL15dequantize_q4_0PKvliR15HIP_vector_typeIfLj2EEEE6__halfEvS1_PT2_lllS2_IjLj3EElll
	.p2align	8
	.type	_ZL16dequantize_blockILi32ELi2EXadL_ZL15dequantize_q4_0PKvliR15HIP_vector_typeIfLj2EEEE6__halfEvS1_PT2_lllS2_IjLj3EElll,@function
_ZL16dequantize_blockILi32ELi2EXadL_ZL15dequantize_q4_0PKvliR15HIP_vector_typeIfLj2EEEE6__halfEvS1_PT2_lllS2_IjLj3EElll: ; @_ZL16dequantize_blockILi32ELi2EXadL_ZL15dequantize_q4_0PKvliR15HIP_vector_typeIfLj2EEEE6__halfEvS1_PT2_lllS2_IjLj3EElll
; %bb.0:
	s_load_dword s0, s[4:5], 0x5c
	s_add_u32 s24, s4, 0x50
	s_addc_u32 s25, s5, 0
	v_mov_b32_e32 v1, 0
	v_mov_b32_e32 v2, s6
	s_waitcnt lgkmcnt(0)
	s_and_b32 s0, s0, 0xffff
	v_mad_u64_u32 v[2:3], s[0:1], s0, v2, v[0:1]
	s_load_dwordx4 s[0:3], s[4:5], 0x10
	s_mov_b32 s10, s7
	v_lshlrev_b64 v[0:1], 1, v[2:3]
	s_waitcnt lgkmcnt(0)
	v_cmp_gt_i64_e32 vcc, s[0:1], v[0:1]
	s_and_saveexec_b64 s[6:7], vcc
	s_cbranch_execz .LBB40_7
; %bb.1:
	s_load_dwordx2 s[6:7], s[4:5], 0x20
	s_mov_b32 s11, 0
	v_mov_b32_e32 v0, s10
	v_mov_b32_e32 v1, s11
	v_cmp_le_i64_e32 vcc, s[2:3], v[0:1]
	s_cbranch_vccnz .LBB40_7
; %bb.2:
	s_load_dwordx4 s[20:23], s[4:5], 0x0
	s_load_dwordx8 s[12:19], s[4:5], 0x28
	s_load_dwordx2 s[26:27], s[4:5], 0x48
	s_mul_i32 s4, s3, s8
	s_mul_hi_u32 s5, s2, s8
	s_add_i32 s5, s5, s4
	s_mul_i32 s4, s2, s8
	s_add_u32 s4, s4, s10
	s_addc_u32 s5, s5, 0
	v_lshrrev_b64 v[0:1], 4, v[2:3]
	s_mul_i32 s5, s0, s5
	s_waitcnt lgkmcnt(0)
	s_mul_hi_u32 s15, s0, s4
	s_add_i32 s5, s15, s5
	s_mul_i32 s15, s1, s4
	v_and_b32_e32 v8, 15, v2
	s_add_i32 s5, s5, s15
	s_mul_i32 s4, s0, s4
	v_lshlrev_b64 v[2:3], 6, v[0:1]
	s_lshl_b64 s[4:5], s[4:5], 1
	v_mov_b32_e32 v6, s5
	v_add_co_u32_e32 v2, vcc, s4, v2
	v_addc_co_u32_e32 v3, vcc, v6, v3, vcc
	v_lshlrev_b32_e32 v6, 1, v8
	v_add_co_u32_e32 v2, vcc, v2, v6
	s_load_dword s28, s[24:25], 0x4
	v_addc_co_u32_e32 v3, vcc, 0, v3, vcc
	v_mov_b32_e32 v6, s23
	v_add_co_u32_e32 v2, vcc, s22, v2
	v_addc_co_u32_e32 v3, vcc, v6, v3, vcc
	s_mov_b32 s9, s11
	v_mov_b32_e32 v4, s8
	v_add_co_u32_e32 v2, vcc, 32, v2
	v_mov_b32_e32 v5, s9
	v_addc_co_u32_e32 v3, vcc, 0, v3, vcc
	s_waitcnt lgkmcnt(0)
	s_mul_i32 s4, s1, s28
	s_mul_i32 s1, s2, s1
	s_mul_hi_u32 s15, s2, s0
	v_cmp_gt_i64_e32 vcc, s[6:7], v[4:5]
	s_mul_hi_u32 s5, s0, s28
	s_add_i32 s1, s15, s1
	s_mul_i32 s15, s3, s0
	s_add_i32 s5, s5, s4
	s_mul_i32 s4, s0, s28
	s_add_i32 s1, s1, s15
	s_mul_i32 s0, s2, s0
	v_cndmask_b32_e64 v4, 0, 1, vcc
	s_lshl_b64 s[4:5], s[4:5], 1
	s_lshl_b64 s[22:23], s[0:1], 1
	v_cmp_ne_u32_e64 s[0:1], 1, v4
	v_mov_b32_e32 v5, s3
	s_sub_i32 s29, 0, s14
	v_mov_b32_e32 v9, s5
	v_mov_b32_e32 v4, s2
	s_branch .LBB40_4
.LBB40_3:                               ;   in Loop: Header=BB40_4 Depth=1
	s_add_u32 s10, s10, s28
	s_addc_u32 s11, s11, 0
	v_cmp_ge_i64_e32 vcc, s[10:11], v[4:5]
	v_add_co_u32_e64 v2, s[2:3], s4, v2
	v_addc_co_u32_e64 v3, s[2:3], v3, v9, s[2:3]
	s_cbranch_vccnz .LBB40_7
.LBB40_4:                               ; =>This Loop Header: Depth=1
                                        ;     Child Loop BB40_6 Depth 2
	s_and_b64 vcc, exec, s[0:1]
	s_cbranch_vccnz .LBB40_3
; %bb.5:                                ;   in Loop: Header=BB40_4 Depth=1
	s_load_dword s5, s[24:25], 0x8
	s_mul_i32 s2, s10, s17
	s_mul_hi_u32 s3, s10, s16
	s_add_i32 s2, s3, s2
	s_mul_i32 s3, s11, s16
	s_add_i32 s2, s2, s3
	s_mul_i32 s3, s10, s16
	s_waitcnt lgkmcnt(0)
	s_mul_i32 s14, s23, s5
	s_mul_hi_u32 s15, s22, s5
	s_mul_i32 s2, s2, 18
	s_mul_hi_u32 s33, s3, 18
	v_mov_b32_e32 v7, v3
	s_add_i32 s30, s15, s14
	s_mul_i32 s31, s22, s5
	s_add_i32 s33, s33, s2
	s_mul_i32 s34, s3, 18
	v_mov_b32_e32 v6, v2
	s_mov_b64 s[14:15], s[8:9]
.LBB40_6:                               ;   Parent Loop BB40_4 Depth=1
                                        ; =>  This Inner Loop Header: Depth=2
	s_mul_hi_u32 s2, s12, s14
	s_add_i32 s2, s14, s2
	s_lshr_b32 s2, s2, s13
	s_mul_i32 s3, s29, s2
	s_mul_i32 s35, s27, s2
	s_mul_hi_u32 s36, s26, s2
	s_mul_i32 s2, s26, s2
	s_add_i32 s3, s14, s3
	s_add_i32 s35, s36, s35
	s_mul_hi_u32 s36, s2, 18
	s_mul_i32 s37, s19, s3
	s_mul_hi_u32 s38, s18, s3
	s_mul_i32 s35, s35, 18
	s_mul_i32 s2, s2, 18
	;; [unrolled: 1-line block ×3, first 2 shown]
	s_add_i32 s37, s38, s37
	s_add_i32 s36, s36, s35
	s_mul_hi_u32 s35, s3, 18
	s_add_u32 s2, s20, s2
	s_mul_i32 s37, s37, 18
	s_mul_i32 s3, s3, 18
	s_addc_u32 s36, s21, s36
	s_add_i32 s35, s35, s37
	s_add_u32 s2, s2, s3
	s_addc_u32 s3, s36, s35
	s_add_u32 s2, s2, s34
	s_addc_u32 s3, s3, s33
	v_mad_u64_u32 v[10:11], s[2:3], v0, 18, s[2:3]
	s_add_u32 s14, s14, s5
	s_addc_u32 s15, s15, 0
	v_mad_u64_u32 v[12:13], s[2:3], v1, 18, v[11:12]
	v_add_co_u32_e32 v13, vcc, v10, v8
	v_addc_co_u32_e32 v14, vcc, 0, v12, vcc
	v_mov_b32_e32 v11, v12
	global_load_ubyte v12, v[13:14], off offset:2
	global_load_ushort v15, v[10:11], off
	v_mov_b32_e32 v11, s7
	v_mov_b32_e32 v10, s6
	v_cmp_ge_i64_e32 vcc, s[14:15], v[10:11]
	v_mov_b32_e32 v13, s30
	s_and_b64 vcc, exec, vcc
	s_waitcnt vmcnt(1)
	v_and_b32_e32 v10, 15, v12
	v_lshrrev_b32_e32 v11, 4, v12
	v_add_u32_e32 v10, -8, v10
	v_add_u32_e32 v11, -8, v11
	v_cvt_f32_i32_e32 v10, v10
	v_cvt_f32_i32_e32 v11, v11
	s_waitcnt vmcnt(0)
	v_fma_mixlo_f16 v10, v15, v10, 0 op_sel_hi:[1,0,0]
	v_fma_mixlo_f16 v11, v15, v11, 0 op_sel_hi:[1,0,0]
	global_store_short v[6:7], v10, off offset:-32
	global_store_short v[6:7], v11, off
	v_add_co_u32_e64 v6, s[2:3], s31, v6
	v_addc_co_u32_e64 v7, s[2:3], v7, v13, s[2:3]
	s_cbranch_vccz .LBB40_6
	s_branch .LBB40_3
.LBB40_7:
	s_endpgm
	.section	.rodata,"a",@progbits
	.p2align	6, 0x0
	.amdhsa_kernel _ZL16dequantize_blockILi32ELi2EXadL_ZL15dequantize_q4_0PKvliR15HIP_vector_typeIfLj2EEEE6__halfEvS1_PT2_lllS2_IjLj3EElll
		.amdhsa_group_segment_fixed_size 0
		.amdhsa_private_segment_fixed_size 0
		.amdhsa_kernarg_size 336
		.amdhsa_user_sgpr_count 6
		.amdhsa_user_sgpr_private_segment_buffer 1
		.amdhsa_user_sgpr_dispatch_ptr 0
		.amdhsa_user_sgpr_queue_ptr 0
		.amdhsa_user_sgpr_kernarg_segment_ptr 1
		.amdhsa_user_sgpr_dispatch_id 0
		.amdhsa_user_sgpr_flat_scratch_init 0
		.amdhsa_user_sgpr_private_segment_size 0
		.amdhsa_uses_dynamic_stack 0
		.amdhsa_system_sgpr_private_segment_wavefront_offset 0
		.amdhsa_system_sgpr_workgroup_id_x 1
		.amdhsa_system_sgpr_workgroup_id_y 1
		.amdhsa_system_sgpr_workgroup_id_z 1
		.amdhsa_system_sgpr_workgroup_info 0
		.amdhsa_system_vgpr_workitem_id 0
		.amdhsa_next_free_vgpr 16
		.amdhsa_next_free_sgpr 39
		.amdhsa_reserve_vcc 1
		.amdhsa_reserve_flat_scratch 0
		.amdhsa_float_round_mode_32 0
		.amdhsa_float_round_mode_16_64 0
		.amdhsa_float_denorm_mode_32 3
		.amdhsa_float_denorm_mode_16_64 3
		.amdhsa_dx10_clamp 1
		.amdhsa_ieee_mode 1
		.amdhsa_fp16_overflow 0
		.amdhsa_exception_fp_ieee_invalid_op 0
		.amdhsa_exception_fp_denorm_src 0
		.amdhsa_exception_fp_ieee_div_zero 0
		.amdhsa_exception_fp_ieee_overflow 0
		.amdhsa_exception_fp_ieee_underflow 0
		.amdhsa_exception_fp_ieee_inexact 0
		.amdhsa_exception_int_div_zero 0
	.end_amdhsa_kernel
	.section	.text._ZL16dequantize_blockILi32ELi2EXadL_ZL15dequantize_q4_0PKvliR15HIP_vector_typeIfLj2EEEE6__halfEvS1_PT2_lllS2_IjLj3EElll,"axG",@progbits,_ZL16dequantize_blockILi32ELi2EXadL_ZL15dequantize_q4_0PKvliR15HIP_vector_typeIfLj2EEEE6__halfEvS1_PT2_lllS2_IjLj3EElll,comdat
.Lfunc_end40:
	.size	_ZL16dequantize_blockILi32ELi2EXadL_ZL15dequantize_q4_0PKvliR15HIP_vector_typeIfLj2EEEE6__halfEvS1_PT2_lllS2_IjLj3EElll, .Lfunc_end40-_ZL16dequantize_blockILi32ELi2EXadL_ZL15dequantize_q4_0PKvliR15HIP_vector_typeIfLj2EEEE6__halfEvS1_PT2_lllS2_IjLj3EElll
                                        ; -- End function
	.set _ZL16dequantize_blockILi32ELi2EXadL_ZL15dequantize_q4_0PKvliR15HIP_vector_typeIfLj2EEEE6__halfEvS1_PT2_lllS2_IjLj3EElll.num_vgpr, 16
	.set _ZL16dequantize_blockILi32ELi2EXadL_ZL15dequantize_q4_0PKvliR15HIP_vector_typeIfLj2EEEE6__halfEvS1_PT2_lllS2_IjLj3EElll.num_agpr, 0
	.set _ZL16dequantize_blockILi32ELi2EXadL_ZL15dequantize_q4_0PKvliR15HIP_vector_typeIfLj2EEEE6__halfEvS1_PT2_lllS2_IjLj3EElll.numbered_sgpr, 39
	.set _ZL16dequantize_blockILi32ELi2EXadL_ZL15dequantize_q4_0PKvliR15HIP_vector_typeIfLj2EEEE6__halfEvS1_PT2_lllS2_IjLj3EElll.num_named_barrier, 0
	.set _ZL16dequantize_blockILi32ELi2EXadL_ZL15dequantize_q4_0PKvliR15HIP_vector_typeIfLj2EEEE6__halfEvS1_PT2_lllS2_IjLj3EElll.private_seg_size, 0
	.set _ZL16dequantize_blockILi32ELi2EXadL_ZL15dequantize_q4_0PKvliR15HIP_vector_typeIfLj2EEEE6__halfEvS1_PT2_lllS2_IjLj3EElll.uses_vcc, 1
	.set _ZL16dequantize_blockILi32ELi2EXadL_ZL15dequantize_q4_0PKvliR15HIP_vector_typeIfLj2EEEE6__halfEvS1_PT2_lllS2_IjLj3EElll.uses_flat_scratch, 0
	.set _ZL16dequantize_blockILi32ELi2EXadL_ZL15dequantize_q4_0PKvliR15HIP_vector_typeIfLj2EEEE6__halfEvS1_PT2_lllS2_IjLj3EElll.has_dyn_sized_stack, 0
	.set _ZL16dequantize_blockILi32ELi2EXadL_ZL15dequantize_q4_0PKvliR15HIP_vector_typeIfLj2EEEE6__halfEvS1_PT2_lllS2_IjLj3EElll.has_recursion, 0
	.set _ZL16dequantize_blockILi32ELi2EXadL_ZL15dequantize_q4_0PKvliR15HIP_vector_typeIfLj2EEEE6__halfEvS1_PT2_lllS2_IjLj3EElll.has_indirect_call, 0
	.section	.AMDGPU.csdata,"",@progbits
; Kernel info:
; codeLenInByte = 760
; TotalNumSgprs: 43
; NumVgprs: 16
; ScratchSize: 0
; MemoryBound: 0
; FloatMode: 240
; IeeeMode: 1
; LDSByteSize: 0 bytes/workgroup (compile time only)
; SGPRBlocks: 5
; VGPRBlocks: 3
; NumSGPRsForWavesPerEU: 43
; NumVGPRsForWavesPerEU: 16
; Occupancy: 10
; WaveLimiterHint : 0
; COMPUTE_PGM_RSRC2:SCRATCH_EN: 0
; COMPUTE_PGM_RSRC2:USER_SGPR: 6
; COMPUTE_PGM_RSRC2:TRAP_HANDLER: 0
; COMPUTE_PGM_RSRC2:TGID_X_EN: 1
; COMPUTE_PGM_RSRC2:TGID_Y_EN: 1
; COMPUTE_PGM_RSRC2:TGID_Z_EN: 1
; COMPUTE_PGM_RSRC2:TIDIG_COMP_CNT: 0
	.section	.text._ZL16dequantize_blockILi32ELi2EXadL_ZL15dequantize_q4_1PKvliR15HIP_vector_typeIfLj2EEEE6__halfEvS1_PT2_lllS2_IjLj3EElll,"axG",@progbits,_ZL16dequantize_blockILi32ELi2EXadL_ZL15dequantize_q4_1PKvliR15HIP_vector_typeIfLj2EEEE6__halfEvS1_PT2_lllS2_IjLj3EElll,comdat
	.globl	_ZL16dequantize_blockILi32ELi2EXadL_ZL15dequantize_q4_1PKvliR15HIP_vector_typeIfLj2EEEE6__halfEvS1_PT2_lllS2_IjLj3EElll ; -- Begin function _ZL16dequantize_blockILi32ELi2EXadL_ZL15dequantize_q4_1PKvliR15HIP_vector_typeIfLj2EEEE6__halfEvS1_PT2_lllS2_IjLj3EElll
	.p2align	8
	.type	_ZL16dequantize_blockILi32ELi2EXadL_ZL15dequantize_q4_1PKvliR15HIP_vector_typeIfLj2EEEE6__halfEvS1_PT2_lllS2_IjLj3EElll,@function
_ZL16dequantize_blockILi32ELi2EXadL_ZL15dequantize_q4_1PKvliR15HIP_vector_typeIfLj2EEEE6__halfEvS1_PT2_lllS2_IjLj3EElll: ; @_ZL16dequantize_blockILi32ELi2EXadL_ZL15dequantize_q4_1PKvliR15HIP_vector_typeIfLj2EEEE6__halfEvS1_PT2_lllS2_IjLj3EElll
; %bb.0:
	s_load_dword s0, s[4:5], 0x5c
	s_add_u32 s24, s4, 0x50
	s_addc_u32 s25, s5, 0
	v_mov_b32_e32 v1, 0
	v_mov_b32_e32 v2, s6
	s_waitcnt lgkmcnt(0)
	s_and_b32 s0, s0, 0xffff
	v_mad_u64_u32 v[2:3], s[0:1], s0, v2, v[0:1]
	s_load_dwordx4 s[0:3], s[4:5], 0x10
	s_mov_b32 s10, s7
	v_lshlrev_b64 v[0:1], 1, v[2:3]
	s_waitcnt lgkmcnt(0)
	v_cmp_gt_i64_e32 vcc, s[0:1], v[0:1]
	s_and_saveexec_b64 s[6:7], vcc
	s_cbranch_execz .LBB41_7
; %bb.1:
	s_load_dwordx2 s[6:7], s[4:5], 0x20
	s_mov_b32 s11, 0
	v_mov_b32_e32 v0, s10
	v_mov_b32_e32 v1, s11
	v_cmp_le_i64_e32 vcc, s[2:3], v[0:1]
	s_cbranch_vccnz .LBB41_7
; %bb.2:
	s_load_dwordx4 s[20:23], s[4:5], 0x0
	s_load_dwordx8 s[12:19], s[4:5], 0x28
	s_load_dwordx2 s[26:27], s[4:5], 0x48
	s_mul_i32 s4, s3, s8
	s_mul_hi_u32 s5, s2, s8
	s_add_i32 s5, s5, s4
	s_mul_i32 s4, s2, s8
	s_add_u32 s4, s4, s10
	s_addc_u32 s5, s5, 0
	v_lshrrev_b64 v[0:1], 4, v[2:3]
	s_mul_i32 s5, s0, s5
	s_waitcnt lgkmcnt(0)
	s_mul_hi_u32 s15, s0, s4
	s_add_i32 s5, s15, s5
	s_mul_i32 s15, s1, s4
	v_and_b32_e32 v8, 15, v2
	s_add_i32 s5, s5, s15
	s_mul_i32 s4, s0, s4
	v_lshlrev_b64 v[2:3], 6, v[0:1]
	s_lshl_b64 s[4:5], s[4:5], 1
	v_mov_b32_e32 v6, s5
	v_add_co_u32_e32 v2, vcc, s4, v2
	v_addc_co_u32_e32 v3, vcc, v6, v3, vcc
	v_lshlrev_b32_e32 v6, 1, v8
	v_add_co_u32_e32 v2, vcc, v2, v6
	s_load_dword s28, s[24:25], 0x4
	v_addc_co_u32_e32 v3, vcc, 0, v3, vcc
	v_mov_b32_e32 v6, s23
	v_add_co_u32_e32 v2, vcc, s22, v2
	v_addc_co_u32_e32 v3, vcc, v6, v3, vcc
	s_mov_b32 s9, s11
	v_mov_b32_e32 v4, s8
	v_add_co_u32_e32 v2, vcc, 32, v2
	v_mov_b32_e32 v5, s9
	v_addc_co_u32_e32 v3, vcc, 0, v3, vcc
	s_waitcnt lgkmcnt(0)
	s_mul_i32 s4, s1, s28
	s_mul_i32 s1, s2, s1
	s_mul_hi_u32 s15, s2, s0
	v_cmp_gt_i64_e32 vcc, s[6:7], v[4:5]
	s_mul_hi_u32 s5, s0, s28
	s_add_i32 s1, s15, s1
	s_mul_i32 s15, s3, s0
	s_add_i32 s5, s5, s4
	s_mul_i32 s4, s0, s28
	;; [unrolled: 2-line block ×3, first 2 shown]
	v_cndmask_b32_e64 v4, 0, 1, vcc
	s_lshl_b64 s[4:5], s[4:5], 1
	s_lshl_b64 s[22:23], s[0:1], 1
	v_cmp_ne_u32_e64 s[0:1], 1, v4
	v_mov_b32_e32 v5, s3
	s_sub_i32 s29, 0, s14
	v_mov_b32_e32 v9, s5
	v_mov_b32_e32 v4, s2
	s_branch .LBB41_4
.LBB41_3:                               ;   in Loop: Header=BB41_4 Depth=1
	s_add_u32 s10, s10, s28
	s_addc_u32 s11, s11, 0
	v_cmp_ge_i64_e32 vcc, s[10:11], v[4:5]
	v_add_co_u32_e64 v2, s[2:3], s4, v2
	v_addc_co_u32_e64 v3, s[2:3], v3, v9, s[2:3]
	s_cbranch_vccnz .LBB41_7
.LBB41_4:                               ; =>This Loop Header: Depth=1
                                        ;     Child Loop BB41_6 Depth 2
	s_and_b64 vcc, exec, s[0:1]
	s_cbranch_vccnz .LBB41_3
; %bb.5:                                ;   in Loop: Header=BB41_4 Depth=1
	s_load_dword s5, s[24:25], 0x8
	s_mul_i32 s2, s10, s17
	s_mul_hi_u32 s3, s10, s16
	s_add_i32 s2, s3, s2
	s_mul_i32 s3, s11, s16
	s_add_i32 s2, s2, s3
	s_mul_i32 s3, s10, s16
	s_waitcnt lgkmcnt(0)
	s_mul_i32 s14, s23, s5
	s_mul_hi_u32 s15, s22, s5
	s_mul_i32 s2, s2, 20
	s_mul_hi_u32 s33, s3, 20
	v_mov_b32_e32 v7, v3
	s_add_i32 s30, s15, s14
	s_mul_i32 s31, s22, s5
	s_add_i32 s33, s33, s2
	s_mul_i32 s34, s3, 20
	v_mov_b32_e32 v6, v2
	s_mov_b64 s[14:15], s[8:9]
.LBB41_6:                               ;   Parent Loop BB41_4 Depth=1
                                        ; =>  This Inner Loop Header: Depth=2
	s_mul_hi_u32 s2, s12, s14
	s_add_i32 s2, s14, s2
	s_lshr_b32 s2, s2, s13
	s_mul_i32 s3, s29, s2
	s_mul_i32 s35, s27, s2
	s_mul_hi_u32 s36, s26, s2
	s_mul_i32 s2, s26, s2
	s_add_i32 s3, s14, s3
	s_add_i32 s35, s36, s35
	s_mul_hi_u32 s36, s2, 20
	s_mul_i32 s37, s19, s3
	s_mul_hi_u32 s38, s18, s3
	s_mul_i32 s35, s35, 20
	s_mul_i32 s2, s2, 20
	;; [unrolled: 1-line block ×3, first 2 shown]
	s_add_i32 s37, s38, s37
	s_add_i32 s36, s36, s35
	s_mul_hi_u32 s35, s3, 20
	s_add_u32 s2, s20, s2
	s_mul_i32 s37, s37, 20
	s_mul_i32 s3, s3, 20
	s_addc_u32 s36, s21, s36
	s_add_i32 s35, s35, s37
	s_add_u32 s2, s2, s3
	s_addc_u32 s3, s36, s35
	s_add_u32 s2, s2, s34
	s_addc_u32 s3, s3, s33
	v_mad_u64_u32 v[10:11], s[2:3], v0, 20, s[2:3]
	s_add_u32 s14, s14, s5
	s_addc_u32 s15, s15, 0
	v_mad_u64_u32 v[12:13], s[2:3], v1, 20, v[11:12]
	v_add_co_u32_e32 v13, vcc, v10, v8
	v_addc_co_u32_e32 v14, vcc, 0, v12, vcc
	v_mov_b32_e32 v11, v12
	global_load_ubyte v12, v[13:14], off offset:4
	global_load_dword v15, v[10:11], off
	v_mov_b32_e32 v11, s7
	v_mov_b32_e32 v10, s6
	v_cmp_ge_i64_e32 vcc, s[14:15], v[10:11]
	v_mov_b32_e32 v13, s30
	s_and_b64 vcc, exec, vcc
	s_waitcnt vmcnt(1)
	v_and_b32_e32 v10, 15, v12
	v_lshrrev_b32_e32 v11, 4, v12
	v_cvt_f32_ubyte0_e32 v10, v10
	v_cvt_f32_ubyte0_e32 v11, v11
	s_waitcnt vmcnt(0)
	v_fma_mixlo_f16 v10, v15, v10, v15 op_sel:[0,0,1] op_sel_hi:[1,0,1]
	v_fma_mixlo_f16 v11, v15, v11, v15 op_sel:[0,0,1] op_sel_hi:[1,0,1]
	global_store_short v[6:7], v10, off offset:-32
	global_store_short v[6:7], v11, off
	v_add_co_u32_e64 v6, s[2:3], s31, v6
	v_addc_co_u32_e64 v7, s[2:3], v7, v13, s[2:3]
	s_cbranch_vccz .LBB41_6
	s_branch .LBB41_3
.LBB41_7:
	s_endpgm
	.section	.rodata,"a",@progbits
	.p2align	6, 0x0
	.amdhsa_kernel _ZL16dequantize_blockILi32ELi2EXadL_ZL15dequantize_q4_1PKvliR15HIP_vector_typeIfLj2EEEE6__halfEvS1_PT2_lllS2_IjLj3EElll
		.amdhsa_group_segment_fixed_size 0
		.amdhsa_private_segment_fixed_size 0
		.amdhsa_kernarg_size 336
		.amdhsa_user_sgpr_count 6
		.amdhsa_user_sgpr_private_segment_buffer 1
		.amdhsa_user_sgpr_dispatch_ptr 0
		.amdhsa_user_sgpr_queue_ptr 0
		.amdhsa_user_sgpr_kernarg_segment_ptr 1
		.amdhsa_user_sgpr_dispatch_id 0
		.amdhsa_user_sgpr_flat_scratch_init 0
		.amdhsa_user_sgpr_private_segment_size 0
		.amdhsa_uses_dynamic_stack 0
		.amdhsa_system_sgpr_private_segment_wavefront_offset 0
		.amdhsa_system_sgpr_workgroup_id_x 1
		.amdhsa_system_sgpr_workgroup_id_y 1
		.amdhsa_system_sgpr_workgroup_id_z 1
		.amdhsa_system_sgpr_workgroup_info 0
		.amdhsa_system_vgpr_workitem_id 0
		.amdhsa_next_free_vgpr 16
		.amdhsa_next_free_sgpr 39
		.amdhsa_reserve_vcc 1
		.amdhsa_reserve_flat_scratch 0
		.amdhsa_float_round_mode_32 0
		.amdhsa_float_round_mode_16_64 0
		.amdhsa_float_denorm_mode_32 3
		.amdhsa_float_denorm_mode_16_64 3
		.amdhsa_dx10_clamp 1
		.amdhsa_ieee_mode 1
		.amdhsa_fp16_overflow 0
		.amdhsa_exception_fp_ieee_invalid_op 0
		.amdhsa_exception_fp_denorm_src 0
		.amdhsa_exception_fp_ieee_div_zero 0
		.amdhsa_exception_fp_ieee_overflow 0
		.amdhsa_exception_fp_ieee_underflow 0
		.amdhsa_exception_fp_ieee_inexact 0
		.amdhsa_exception_int_div_zero 0
	.end_amdhsa_kernel
	.section	.text._ZL16dequantize_blockILi32ELi2EXadL_ZL15dequantize_q4_1PKvliR15HIP_vector_typeIfLj2EEEE6__halfEvS1_PT2_lllS2_IjLj3EElll,"axG",@progbits,_ZL16dequantize_blockILi32ELi2EXadL_ZL15dequantize_q4_1PKvliR15HIP_vector_typeIfLj2EEEE6__halfEvS1_PT2_lllS2_IjLj3EElll,comdat
.Lfunc_end41:
	.size	_ZL16dequantize_blockILi32ELi2EXadL_ZL15dequantize_q4_1PKvliR15HIP_vector_typeIfLj2EEEE6__halfEvS1_PT2_lllS2_IjLj3EElll, .Lfunc_end41-_ZL16dequantize_blockILi32ELi2EXadL_ZL15dequantize_q4_1PKvliR15HIP_vector_typeIfLj2EEEE6__halfEvS1_PT2_lllS2_IjLj3EElll
                                        ; -- End function
	.set _ZL16dequantize_blockILi32ELi2EXadL_ZL15dequantize_q4_1PKvliR15HIP_vector_typeIfLj2EEEE6__halfEvS1_PT2_lllS2_IjLj3EElll.num_vgpr, 16
	.set _ZL16dequantize_blockILi32ELi2EXadL_ZL15dequantize_q4_1PKvliR15HIP_vector_typeIfLj2EEEE6__halfEvS1_PT2_lllS2_IjLj3EElll.num_agpr, 0
	.set _ZL16dequantize_blockILi32ELi2EXadL_ZL15dequantize_q4_1PKvliR15HIP_vector_typeIfLj2EEEE6__halfEvS1_PT2_lllS2_IjLj3EElll.numbered_sgpr, 39
	.set _ZL16dequantize_blockILi32ELi2EXadL_ZL15dequantize_q4_1PKvliR15HIP_vector_typeIfLj2EEEE6__halfEvS1_PT2_lllS2_IjLj3EElll.num_named_barrier, 0
	.set _ZL16dequantize_blockILi32ELi2EXadL_ZL15dequantize_q4_1PKvliR15HIP_vector_typeIfLj2EEEE6__halfEvS1_PT2_lllS2_IjLj3EElll.private_seg_size, 0
	.set _ZL16dequantize_blockILi32ELi2EXadL_ZL15dequantize_q4_1PKvliR15HIP_vector_typeIfLj2EEEE6__halfEvS1_PT2_lllS2_IjLj3EElll.uses_vcc, 1
	.set _ZL16dequantize_blockILi32ELi2EXadL_ZL15dequantize_q4_1PKvliR15HIP_vector_typeIfLj2EEEE6__halfEvS1_PT2_lllS2_IjLj3EElll.uses_flat_scratch, 0
	.set _ZL16dequantize_blockILi32ELi2EXadL_ZL15dequantize_q4_1PKvliR15HIP_vector_typeIfLj2EEEE6__halfEvS1_PT2_lllS2_IjLj3EElll.has_dyn_sized_stack, 0
	.set _ZL16dequantize_blockILi32ELi2EXadL_ZL15dequantize_q4_1PKvliR15HIP_vector_typeIfLj2EEEE6__halfEvS1_PT2_lllS2_IjLj3EElll.has_recursion, 0
	.set _ZL16dequantize_blockILi32ELi2EXadL_ZL15dequantize_q4_1PKvliR15HIP_vector_typeIfLj2EEEE6__halfEvS1_PT2_lllS2_IjLj3EElll.has_indirect_call, 0
	.section	.AMDGPU.csdata,"",@progbits
; Kernel info:
; codeLenInByte = 752
; TotalNumSgprs: 43
; NumVgprs: 16
; ScratchSize: 0
; MemoryBound: 0
; FloatMode: 240
; IeeeMode: 1
; LDSByteSize: 0 bytes/workgroup (compile time only)
; SGPRBlocks: 5
; VGPRBlocks: 3
; NumSGPRsForWavesPerEU: 43
; NumVGPRsForWavesPerEU: 16
; Occupancy: 10
; WaveLimiterHint : 0
; COMPUTE_PGM_RSRC2:SCRATCH_EN: 0
; COMPUTE_PGM_RSRC2:USER_SGPR: 6
; COMPUTE_PGM_RSRC2:TRAP_HANDLER: 0
; COMPUTE_PGM_RSRC2:TGID_X_EN: 1
; COMPUTE_PGM_RSRC2:TGID_Y_EN: 1
; COMPUTE_PGM_RSRC2:TGID_Z_EN: 1
; COMPUTE_PGM_RSRC2:TIDIG_COMP_CNT: 0
	.section	.text._ZL16dequantize_blockILi32ELi2EXadL_ZL15dequantize_q5_0PKvliR15HIP_vector_typeIfLj2EEEE6__halfEvS1_PT2_lllS2_IjLj3EElll,"axG",@progbits,_ZL16dequantize_blockILi32ELi2EXadL_ZL15dequantize_q5_0PKvliR15HIP_vector_typeIfLj2EEEE6__halfEvS1_PT2_lllS2_IjLj3EElll,comdat
	.globl	_ZL16dequantize_blockILi32ELi2EXadL_ZL15dequantize_q5_0PKvliR15HIP_vector_typeIfLj2EEEE6__halfEvS1_PT2_lllS2_IjLj3EElll ; -- Begin function _ZL16dequantize_blockILi32ELi2EXadL_ZL15dequantize_q5_0PKvliR15HIP_vector_typeIfLj2EEEE6__halfEvS1_PT2_lllS2_IjLj3EElll
	.p2align	8
	.type	_ZL16dequantize_blockILi32ELi2EXadL_ZL15dequantize_q5_0PKvliR15HIP_vector_typeIfLj2EEEE6__halfEvS1_PT2_lllS2_IjLj3EElll,@function
_ZL16dequantize_blockILi32ELi2EXadL_ZL15dequantize_q5_0PKvliR15HIP_vector_typeIfLj2EEEE6__halfEvS1_PT2_lllS2_IjLj3EElll: ; @_ZL16dequantize_blockILi32ELi2EXadL_ZL15dequantize_q5_0PKvliR15HIP_vector_typeIfLj2EEEE6__halfEvS1_PT2_lllS2_IjLj3EElll
; %bb.0:
	s_load_dword s0, s[4:5], 0x5c
	s_add_u32 s24, s4, 0x50
	s_addc_u32 s25, s5, 0
	v_mov_b32_e32 v1, 0
	v_mov_b32_e32 v2, s6
	s_waitcnt lgkmcnt(0)
	s_and_b32 s0, s0, 0xffff
	v_mad_u64_u32 v[2:3], s[0:1], s0, v2, v[0:1]
	s_load_dwordx4 s[0:3], s[4:5], 0x10
	s_mov_b32 s10, s7
	v_lshlrev_b64 v[0:1], 1, v[2:3]
	s_waitcnt lgkmcnt(0)
	v_cmp_gt_i64_e32 vcc, s[0:1], v[0:1]
	s_and_saveexec_b64 s[6:7], vcc
	s_cbranch_execz .LBB42_7
; %bb.1:
	s_load_dwordx2 s[6:7], s[4:5], 0x20
	s_mov_b32 s11, 0
	v_mov_b32_e32 v0, s10
	v_mov_b32_e32 v1, s11
	v_cmp_le_i64_e32 vcc, s[2:3], v[0:1]
	s_cbranch_vccnz .LBB42_7
; %bb.2:
	s_load_dwordx4 s[20:23], s[4:5], 0x0
	s_load_dwordx8 s[12:19], s[4:5], 0x28
	s_load_dwordx2 s[26:27], s[4:5], 0x48
	s_mul_i32 s4, s3, s8
	s_mul_hi_u32 s5, s2, s8
	s_add_i32 s5, s5, s4
	s_mul_i32 s4, s2, s8
	s_add_u32 s4, s4, s10
	s_addc_u32 s5, s5, 0
	v_lshrrev_b64 v[0:1], 4, v[2:3]
	s_mul_i32 s5, s0, s5
	s_waitcnt lgkmcnt(0)
	s_mul_hi_u32 s15, s0, s4
	s_add_i32 s5, s15, s5
	s_mul_i32 s15, s1, s4
	v_and_b32_e32 v8, 15, v2
	s_add_i32 s5, s5, s15
	s_mul_i32 s4, s0, s4
	v_lshlrev_b64 v[2:3], 6, v[0:1]
	s_lshl_b64 s[4:5], s[4:5], 1
	v_mov_b32_e32 v6, s5
	v_add_co_u32_e32 v2, vcc, s4, v2
	v_addc_co_u32_e32 v3, vcc, v6, v3, vcc
	v_lshlrev_b32_e32 v6, 1, v8
	v_add_co_u32_e32 v2, vcc, v2, v6
	s_load_dword s28, s[24:25], 0x4
	v_addc_co_u32_e32 v3, vcc, 0, v3, vcc
	v_mov_b32_e32 v6, s23
	v_add_co_u32_e32 v2, vcc, s22, v2
	v_addc_co_u32_e32 v3, vcc, v6, v3, vcc
	s_mov_b32 s9, s11
	v_mov_b32_e32 v4, s8
	v_add_co_u32_e32 v2, vcc, 32, v2
	v_mov_b32_e32 v5, s9
	v_addc_co_u32_e32 v3, vcc, 0, v3, vcc
	s_waitcnt lgkmcnt(0)
	s_mul_i32 s4, s1, s28
	s_mul_i32 s1, s2, s1
	s_mul_hi_u32 s15, s2, s0
	v_cmp_gt_i64_e32 vcc, s[6:7], v[4:5]
	s_mul_hi_u32 s5, s0, s28
	s_add_i32 s1, s15, s1
	s_mul_i32 s15, s3, s0
	s_add_i32 s5, s5, s4
	s_mul_i32 s4, s0, s28
	;; [unrolled: 2-line block ×3, first 2 shown]
	v_cndmask_b32_e64 v4, 0, 1, vcc
	s_lshl_b64 s[4:5], s[4:5], 1
	s_lshl_b64 s[22:23], s[0:1], 1
	v_cmp_ne_u32_e64 s[0:1], 1, v4
	v_mov_b32_e32 v5, s3
	v_add_u32_e32 v9, 12, v8
	s_sub_i32 s29, 0, s14
	s_mov_b32 s30, 0x1000706
	v_mov_b32_e32 v10, s5
	v_mov_b32_e32 v4, s2
	s_branch .LBB42_4
.LBB42_3:                               ;   in Loop: Header=BB42_4 Depth=1
	s_add_u32 s10, s10, s28
	s_addc_u32 s11, s11, 0
	v_cmp_ge_i64_e32 vcc, s[10:11], v[4:5]
	v_add_co_u32_e64 v2, s[2:3], s4, v2
	v_addc_co_u32_e64 v3, s[2:3], v3, v10, s[2:3]
	s_cbranch_vccnz .LBB42_7
.LBB42_4:                               ; =>This Loop Header: Depth=1
                                        ;     Child Loop BB42_6 Depth 2
	s_and_b64 vcc, exec, s[0:1]
	s_cbranch_vccnz .LBB42_3
; %bb.5:                                ;   in Loop: Header=BB42_4 Depth=1
	s_load_dword s5, s[24:25], 0x8
	s_mul_i32 s2, s10, s17
	s_mul_hi_u32 s3, s10, s16
	s_add_i32 s2, s3, s2
	s_mul_i32 s3, s11, s16
	s_add_i32 s2, s2, s3
	s_mul_i32 s3, s10, s16
	s_waitcnt lgkmcnt(0)
	s_mul_i32 s14, s23, s5
	s_mul_hi_u32 s15, s22, s5
	s_mul_i32 s2, s2, 22
	s_mul_hi_u32 s34, s3, 22
	v_mov_b32_e32 v7, v3
	s_add_i32 s31, s15, s14
	s_mul_i32 s33, s22, s5
	s_add_i32 s34, s34, s2
	s_mul_i32 s35, s3, 22
	v_mov_b32_e32 v6, v2
	s_mov_b64 s[14:15], s[8:9]
.LBB42_6:                               ;   Parent Loop BB42_4 Depth=1
                                        ; =>  This Inner Loop Header: Depth=2
	s_mul_hi_u32 s2, s12, s14
	s_add_i32 s2, s14, s2
	s_lshr_b32 s2, s2, s13
	s_mul_i32 s3, s29, s2
	s_mul_i32 s36, s27, s2
	s_mul_hi_u32 s37, s26, s2
	s_mul_i32 s2, s26, s2
	s_add_i32 s3, s14, s3
	s_add_i32 s36, s37, s36
	s_mul_hi_u32 s37, s2, 22
	s_mul_i32 s38, s19, s3
	s_mul_hi_u32 s39, s18, s3
	s_mul_i32 s36, s36, 22
	s_mul_i32 s2, s2, 22
	;; [unrolled: 1-line block ×3, first 2 shown]
	s_add_i32 s38, s39, s38
	s_add_i32 s37, s37, s36
	s_mul_hi_u32 s36, s3, 22
	s_add_u32 s2, s20, s2
	s_mul_i32 s38, s38, 22
	s_mul_i32 s3, s3, 22
	s_addc_u32 s37, s21, s37
	s_add_i32 s36, s36, s38
	s_add_u32 s2, s2, s3
	s_addc_u32 s3, s37, s36
	s_add_u32 s2, s2, s35
	s_addc_u32 s3, s3, s34
	v_mad_u64_u32 v[11:12], s[2:3], v0, 22, s[2:3]
	s_add_u32 s14, s14, s5
	s_addc_u32 s15, s15, 0
	v_mad_u64_u32 v[13:14], s[2:3], v1, 22, v[12:13]
	v_add_co_u32_e32 v14, vcc, v11, v8
	v_mov_b32_e32 v12, v13
	v_addc_co_u32_e32 v15, vcc, 0, v13, vcc
	global_load_dword v13, v[11:12], off
	global_load_ushort v16, v[11:12], off offset:4
	global_load_ubyte v17, v[14:15], off offset:6
	v_mov_b32_e32 v12, s7
	v_mov_b32_e32 v11, s6
	v_cmp_ge_i64_e32 vcc, s[14:15], v[11:12]
	v_mov_b32_e32 v14, s31
	s_and_b64 vcc, exec, vcc
	s_waitcnt vmcnt(1)
	v_perm_b32 v11, v13, v16, s30
	s_waitcnt vmcnt(0)
	v_lshrrev_b16_e32 v12, 4, v17
	v_lshrrev_b32_e32 v16, v8, v11
	v_lshrrev_b32_e32 v11, v9, v11
	v_or_b32_e32 v12, -16, v12
	v_lshlrev_b32_e32 v16, 4, v16
	v_and_b32_e32 v11, 16, v11
	v_or_b32_e32 v15, -16, v17
	v_and_b32_e32 v16, 16, v16
	v_add_u32_sdwa v11, v11, sext(v12) dst_sel:DWORD dst_unused:UNUSED_PAD src0_sel:DWORD src1_sel:WORD_0
	v_add_u32_e32 v12, v15, v16
	v_cvt_f32_i32_e32 v11, v11
	v_cvt_f32_i32_e32 v12, v12
	v_fma_mixlo_f16 v11, v13, v11, 0 op_sel_hi:[1,0,0]
	v_fma_mixlo_f16 v12, v13, v12, 0 op_sel_hi:[1,0,0]
	global_store_short v[6:7], v11, off
	global_store_short v[6:7], v12, off offset:-32
	v_add_co_u32_e64 v6, s[2:3], s33, v6
	v_addc_co_u32_e64 v7, s[2:3], v7, v14, s[2:3]
	s_cbranch_vccz .LBB42_6
	s_branch .LBB42_3
.LBB42_7:
	s_endpgm
	.section	.rodata,"a",@progbits
	.p2align	6, 0x0
	.amdhsa_kernel _ZL16dequantize_blockILi32ELi2EXadL_ZL15dequantize_q5_0PKvliR15HIP_vector_typeIfLj2EEEE6__halfEvS1_PT2_lllS2_IjLj3EElll
		.amdhsa_group_segment_fixed_size 0
		.amdhsa_private_segment_fixed_size 0
		.amdhsa_kernarg_size 336
		.amdhsa_user_sgpr_count 6
		.amdhsa_user_sgpr_private_segment_buffer 1
		.amdhsa_user_sgpr_dispatch_ptr 0
		.amdhsa_user_sgpr_queue_ptr 0
		.amdhsa_user_sgpr_kernarg_segment_ptr 1
		.amdhsa_user_sgpr_dispatch_id 0
		.amdhsa_user_sgpr_flat_scratch_init 0
		.amdhsa_user_sgpr_private_segment_size 0
		.amdhsa_uses_dynamic_stack 0
		.amdhsa_system_sgpr_private_segment_wavefront_offset 0
		.amdhsa_system_sgpr_workgroup_id_x 1
		.amdhsa_system_sgpr_workgroup_id_y 1
		.amdhsa_system_sgpr_workgroup_id_z 1
		.amdhsa_system_sgpr_workgroup_info 0
		.amdhsa_system_vgpr_workitem_id 0
		.amdhsa_next_free_vgpr 18
		.amdhsa_next_free_sgpr 40
		.amdhsa_reserve_vcc 1
		.amdhsa_reserve_flat_scratch 0
		.amdhsa_float_round_mode_32 0
		.amdhsa_float_round_mode_16_64 0
		.amdhsa_float_denorm_mode_32 3
		.amdhsa_float_denorm_mode_16_64 3
		.amdhsa_dx10_clamp 1
		.amdhsa_ieee_mode 1
		.amdhsa_fp16_overflow 0
		.amdhsa_exception_fp_ieee_invalid_op 0
		.amdhsa_exception_fp_denorm_src 0
		.amdhsa_exception_fp_ieee_div_zero 0
		.amdhsa_exception_fp_ieee_overflow 0
		.amdhsa_exception_fp_ieee_underflow 0
		.amdhsa_exception_fp_ieee_inexact 0
		.amdhsa_exception_int_div_zero 0
	.end_amdhsa_kernel
	.section	.text._ZL16dequantize_blockILi32ELi2EXadL_ZL15dequantize_q5_0PKvliR15HIP_vector_typeIfLj2EEEE6__halfEvS1_PT2_lllS2_IjLj3EElll,"axG",@progbits,_ZL16dequantize_blockILi32ELi2EXadL_ZL15dequantize_q5_0PKvliR15HIP_vector_typeIfLj2EEEE6__halfEvS1_PT2_lllS2_IjLj3EElll,comdat
.Lfunc_end42:
	.size	_ZL16dequantize_blockILi32ELi2EXadL_ZL15dequantize_q5_0PKvliR15HIP_vector_typeIfLj2EEEE6__halfEvS1_PT2_lllS2_IjLj3EElll, .Lfunc_end42-_ZL16dequantize_blockILi32ELi2EXadL_ZL15dequantize_q5_0PKvliR15HIP_vector_typeIfLj2EEEE6__halfEvS1_PT2_lllS2_IjLj3EElll
                                        ; -- End function
	.set _ZL16dequantize_blockILi32ELi2EXadL_ZL15dequantize_q5_0PKvliR15HIP_vector_typeIfLj2EEEE6__halfEvS1_PT2_lllS2_IjLj3EElll.num_vgpr, 18
	.set _ZL16dequantize_blockILi32ELi2EXadL_ZL15dequantize_q5_0PKvliR15HIP_vector_typeIfLj2EEEE6__halfEvS1_PT2_lllS2_IjLj3EElll.num_agpr, 0
	.set _ZL16dequantize_blockILi32ELi2EXadL_ZL15dequantize_q5_0PKvliR15HIP_vector_typeIfLj2EEEE6__halfEvS1_PT2_lllS2_IjLj3EElll.numbered_sgpr, 40
	.set _ZL16dequantize_blockILi32ELi2EXadL_ZL15dequantize_q5_0PKvliR15HIP_vector_typeIfLj2EEEE6__halfEvS1_PT2_lllS2_IjLj3EElll.num_named_barrier, 0
	.set _ZL16dequantize_blockILi32ELi2EXadL_ZL15dequantize_q5_0PKvliR15HIP_vector_typeIfLj2EEEE6__halfEvS1_PT2_lllS2_IjLj3EElll.private_seg_size, 0
	.set _ZL16dequantize_blockILi32ELi2EXadL_ZL15dequantize_q5_0PKvliR15HIP_vector_typeIfLj2EEEE6__halfEvS1_PT2_lllS2_IjLj3EElll.uses_vcc, 1
	.set _ZL16dequantize_blockILi32ELi2EXadL_ZL15dequantize_q5_0PKvliR15HIP_vector_typeIfLj2EEEE6__halfEvS1_PT2_lllS2_IjLj3EElll.uses_flat_scratch, 0
	.set _ZL16dequantize_blockILi32ELi2EXadL_ZL15dequantize_q5_0PKvliR15HIP_vector_typeIfLj2EEEE6__halfEvS1_PT2_lllS2_IjLj3EElll.has_dyn_sized_stack, 0
	.set _ZL16dequantize_blockILi32ELi2EXadL_ZL15dequantize_q5_0PKvliR15HIP_vector_typeIfLj2EEEE6__halfEvS1_PT2_lllS2_IjLj3EElll.has_recursion, 0
	.set _ZL16dequantize_blockILi32ELi2EXadL_ZL15dequantize_q5_0PKvliR15HIP_vector_typeIfLj2EEEE6__halfEvS1_PT2_lllS2_IjLj3EElll.has_indirect_call, 0
	.section	.AMDGPU.csdata,"",@progbits
; Kernel info:
; codeLenInByte = 816
; TotalNumSgprs: 44
; NumVgprs: 18
; ScratchSize: 0
; MemoryBound: 0
; FloatMode: 240
; IeeeMode: 1
; LDSByteSize: 0 bytes/workgroup (compile time only)
; SGPRBlocks: 5
; VGPRBlocks: 4
; NumSGPRsForWavesPerEU: 44
; NumVGPRsForWavesPerEU: 18
; Occupancy: 10
; WaveLimiterHint : 0
; COMPUTE_PGM_RSRC2:SCRATCH_EN: 0
; COMPUTE_PGM_RSRC2:USER_SGPR: 6
; COMPUTE_PGM_RSRC2:TRAP_HANDLER: 0
; COMPUTE_PGM_RSRC2:TGID_X_EN: 1
; COMPUTE_PGM_RSRC2:TGID_Y_EN: 1
; COMPUTE_PGM_RSRC2:TGID_Z_EN: 1
; COMPUTE_PGM_RSRC2:TIDIG_COMP_CNT: 0
	.section	.text._ZL16dequantize_blockILi32ELi2EXadL_ZL15dequantize_q5_1PKvliR15HIP_vector_typeIfLj2EEEE6__halfEvS1_PT2_lllS2_IjLj3EElll,"axG",@progbits,_ZL16dequantize_blockILi32ELi2EXadL_ZL15dequantize_q5_1PKvliR15HIP_vector_typeIfLj2EEEE6__halfEvS1_PT2_lllS2_IjLj3EElll,comdat
	.globl	_ZL16dequantize_blockILi32ELi2EXadL_ZL15dequantize_q5_1PKvliR15HIP_vector_typeIfLj2EEEE6__halfEvS1_PT2_lllS2_IjLj3EElll ; -- Begin function _ZL16dequantize_blockILi32ELi2EXadL_ZL15dequantize_q5_1PKvliR15HIP_vector_typeIfLj2EEEE6__halfEvS1_PT2_lllS2_IjLj3EElll
	.p2align	8
	.type	_ZL16dequantize_blockILi32ELi2EXadL_ZL15dequantize_q5_1PKvliR15HIP_vector_typeIfLj2EEEE6__halfEvS1_PT2_lllS2_IjLj3EElll,@function
_ZL16dequantize_blockILi32ELi2EXadL_ZL15dequantize_q5_1PKvliR15HIP_vector_typeIfLj2EEEE6__halfEvS1_PT2_lllS2_IjLj3EElll: ; @_ZL16dequantize_blockILi32ELi2EXadL_ZL15dequantize_q5_1PKvliR15HIP_vector_typeIfLj2EEEE6__halfEvS1_PT2_lllS2_IjLj3EElll
; %bb.0:
	s_load_dword s0, s[4:5], 0x5c
	s_add_u32 s24, s4, 0x50
	s_addc_u32 s25, s5, 0
	v_mov_b32_e32 v1, 0
	v_mov_b32_e32 v2, s6
	s_waitcnt lgkmcnt(0)
	s_and_b32 s0, s0, 0xffff
	v_mad_u64_u32 v[2:3], s[0:1], s0, v2, v[0:1]
	s_load_dwordx4 s[0:3], s[4:5], 0x10
	s_mov_b32 s10, s7
	v_lshlrev_b64 v[0:1], 1, v[2:3]
	s_waitcnt lgkmcnt(0)
	v_cmp_gt_i64_e32 vcc, s[0:1], v[0:1]
	s_and_saveexec_b64 s[6:7], vcc
	s_cbranch_execz .LBB43_7
; %bb.1:
	s_load_dwordx2 s[6:7], s[4:5], 0x20
	s_mov_b32 s11, 0
	v_mov_b32_e32 v0, s10
	v_mov_b32_e32 v1, s11
	v_cmp_le_i64_e32 vcc, s[2:3], v[0:1]
	s_cbranch_vccnz .LBB43_7
; %bb.2:
	s_load_dwordx4 s[20:23], s[4:5], 0x0
	s_load_dwordx8 s[12:19], s[4:5], 0x28
	s_load_dwordx2 s[26:27], s[4:5], 0x48
	s_mul_i32 s4, s3, s8
	s_mul_hi_u32 s5, s2, s8
	s_add_i32 s5, s5, s4
	s_mul_i32 s4, s2, s8
	s_add_u32 s4, s4, s10
	s_addc_u32 s5, s5, 0
	v_lshrrev_b64 v[0:1], 4, v[2:3]
	s_mul_i32 s5, s0, s5
	s_waitcnt lgkmcnt(0)
	s_mul_hi_u32 s15, s0, s4
	s_add_i32 s5, s15, s5
	s_mul_i32 s15, s1, s4
	v_and_b32_e32 v8, 15, v2
	s_add_i32 s5, s5, s15
	s_mul_i32 s4, s0, s4
	v_lshlrev_b64 v[2:3], 6, v[0:1]
	s_lshl_b64 s[4:5], s[4:5], 1
	v_mov_b32_e32 v6, s5
	v_add_co_u32_e32 v2, vcc, s4, v2
	v_addc_co_u32_e32 v3, vcc, v6, v3, vcc
	v_lshlrev_b32_e32 v6, 1, v8
	v_add_co_u32_e32 v2, vcc, v2, v6
	s_load_dword s28, s[24:25], 0x4
	v_addc_co_u32_e32 v3, vcc, 0, v3, vcc
	v_mov_b32_e32 v6, s23
	v_add_co_u32_e32 v2, vcc, s22, v2
	v_addc_co_u32_e32 v3, vcc, v6, v3, vcc
	s_mov_b32 s9, s11
	v_mov_b32_e32 v4, s8
	v_add_co_u32_e32 v2, vcc, 32, v2
	v_mov_b32_e32 v5, s9
	v_addc_co_u32_e32 v3, vcc, 0, v3, vcc
	s_waitcnt lgkmcnt(0)
	s_mul_i32 s4, s1, s28
	s_mul_i32 s1, s2, s1
	s_mul_hi_u32 s15, s2, s0
	v_cmp_gt_i64_e32 vcc, s[6:7], v[4:5]
	s_mul_hi_u32 s5, s0, s28
	s_add_i32 s1, s15, s1
	s_mul_i32 s15, s3, s0
	s_add_i32 s5, s5, s4
	s_mul_i32 s4, s0, s28
	;; [unrolled: 2-line block ×3, first 2 shown]
	v_cndmask_b32_e64 v4, 0, 1, vcc
	s_lshl_b64 s[4:5], s[4:5], 1
	s_lshl_b64 s[22:23], s[0:1], 1
	v_cmp_ne_u32_e64 s[0:1], 1, v4
	v_mov_b32_e32 v5, s3
	v_add_u32_e32 v9, 12, v8
	s_sub_i32 s29, 0, s14
	v_mov_b32_e32 v10, s5
	v_mov_b32_e32 v4, s2
	s_branch .LBB43_4
.LBB43_3:                               ;   in Loop: Header=BB43_4 Depth=1
	s_add_u32 s10, s10, s28
	s_addc_u32 s11, s11, 0
	v_cmp_ge_i64_e32 vcc, s[10:11], v[4:5]
	v_add_co_u32_e64 v2, s[2:3], s4, v2
	v_addc_co_u32_e64 v3, s[2:3], v3, v10, s[2:3]
	s_cbranch_vccnz .LBB43_7
.LBB43_4:                               ; =>This Loop Header: Depth=1
                                        ;     Child Loop BB43_6 Depth 2
	s_and_b64 vcc, exec, s[0:1]
	s_cbranch_vccnz .LBB43_3
; %bb.5:                                ;   in Loop: Header=BB43_4 Depth=1
	s_load_dword s5, s[24:25], 0x8
	s_mul_i32 s2, s10, s17
	s_mul_hi_u32 s3, s10, s16
	s_add_i32 s2, s3, s2
	s_mul_i32 s3, s11, s16
	s_add_i32 s2, s2, s3
	s_mul_i32 s3, s10, s16
	s_waitcnt lgkmcnt(0)
	s_mul_i32 s14, s23, s5
	s_mul_hi_u32 s15, s22, s5
	s_mul_i32 s2, s2, 24
	s_mul_hi_u32 s33, s3, 24
	v_mov_b32_e32 v7, v3
	s_add_i32 s30, s15, s14
	s_mul_i32 s31, s22, s5
	s_add_i32 s33, s33, s2
	s_mul_i32 s34, s3, 24
	v_mov_b32_e32 v6, v2
	s_mov_b64 s[14:15], s[8:9]
.LBB43_6:                               ;   Parent Loop BB43_4 Depth=1
                                        ; =>  This Inner Loop Header: Depth=2
	s_mul_hi_u32 s2, s12, s14
	s_add_i32 s2, s14, s2
	s_lshr_b32 s2, s2, s13
	s_mul_i32 s3, s29, s2
	s_mul_i32 s35, s27, s2
	s_mul_hi_u32 s36, s26, s2
	s_mul_i32 s2, s26, s2
	s_add_i32 s3, s14, s3
	s_add_i32 s35, s36, s35
	s_mul_hi_u32 s36, s2, 24
	s_mul_i32 s37, s19, s3
	s_mul_hi_u32 s38, s18, s3
	s_mul_i32 s35, s35, 24
	s_mul_i32 s2, s2, 24
	;; [unrolled: 1-line block ×3, first 2 shown]
	s_add_i32 s37, s38, s37
	s_add_i32 s36, s36, s35
	s_mul_hi_u32 s35, s3, 24
	s_add_u32 s2, s20, s2
	s_mul_i32 s37, s37, 24
	s_mul_i32 s3, s3, 24
	s_addc_u32 s36, s21, s36
	s_add_i32 s35, s35, s37
	s_add_u32 s2, s2, s3
	s_addc_u32 s3, s36, s35
	s_add_u32 s2, s2, s34
	s_addc_u32 s3, s3, s33
	v_mad_u64_u32 v[11:12], s[2:3], v0, 24, s[2:3]
	s_add_u32 s14, s14, s5
	s_addc_u32 s15, s15, 0
	v_mad_u64_u32 v[13:14], s[2:3], v1, 24, v[12:13]
	v_add_co_u32_e32 v14, vcc, v11, v8
	v_mov_b32_e32 v12, v13
	v_addc_co_u32_e32 v15, vcc, 0, v13, vcc
	global_load_dwordx2 v[16:17], v[11:12], off
	global_load_ubyte v13, v[14:15], off offset:8
	v_mov_b32_e32 v12, s7
	v_mov_b32_e32 v11, s6
	v_cmp_ge_i64_e32 vcc, s[14:15], v[11:12]
	v_mov_b32_e32 v14, s30
	s_and_b64 vcc, exec, vcc
	s_waitcnt vmcnt(1)
	v_lshrrev_b32_e32 v11, v8, v17
	v_lshrrev_b32_e32 v12, v9, v17
	s_waitcnt vmcnt(0)
	v_and_b32_e32 v15, 15, v13
	v_lshrrev_b16_e32 v13, 4, v13
	v_lshlrev_b32_e32 v11, 4, v11
	v_and_or_b32 v12, v12, 16, v13
	v_and_or_b32 v11, v11, 16, v15
	v_cvt_f32_ubyte0_e32 v12, v12
	v_cvt_f32_ubyte0_e32 v11, v11
	v_fma_mixlo_f16 v12, v16, v12, v16 op_sel:[0,0,1] op_sel_hi:[1,0,1]
	v_fma_mixlo_f16 v11, v16, v11, v16 op_sel:[0,0,1] op_sel_hi:[1,0,1]
	global_store_short v[6:7], v12, off
	global_store_short v[6:7], v11, off offset:-32
	v_add_co_u32_e64 v6, s[2:3], s31, v6
	v_addc_co_u32_e64 v7, s[2:3], v7, v14, s[2:3]
	s_cbranch_vccz .LBB43_6
	s_branch .LBB43_3
.LBB43_7:
	s_endpgm
	.section	.rodata,"a",@progbits
	.p2align	6, 0x0
	.amdhsa_kernel _ZL16dequantize_blockILi32ELi2EXadL_ZL15dequantize_q5_1PKvliR15HIP_vector_typeIfLj2EEEE6__halfEvS1_PT2_lllS2_IjLj3EElll
		.amdhsa_group_segment_fixed_size 0
		.amdhsa_private_segment_fixed_size 0
		.amdhsa_kernarg_size 336
		.amdhsa_user_sgpr_count 6
		.amdhsa_user_sgpr_private_segment_buffer 1
		.amdhsa_user_sgpr_dispatch_ptr 0
		.amdhsa_user_sgpr_queue_ptr 0
		.amdhsa_user_sgpr_kernarg_segment_ptr 1
		.amdhsa_user_sgpr_dispatch_id 0
		.amdhsa_user_sgpr_flat_scratch_init 0
		.amdhsa_user_sgpr_private_segment_size 0
		.amdhsa_uses_dynamic_stack 0
		.amdhsa_system_sgpr_private_segment_wavefront_offset 0
		.amdhsa_system_sgpr_workgroup_id_x 1
		.amdhsa_system_sgpr_workgroup_id_y 1
		.amdhsa_system_sgpr_workgroup_id_z 1
		.amdhsa_system_sgpr_workgroup_info 0
		.amdhsa_system_vgpr_workitem_id 0
		.amdhsa_next_free_vgpr 18
		.amdhsa_next_free_sgpr 39
		.amdhsa_reserve_vcc 1
		.amdhsa_reserve_flat_scratch 0
		.amdhsa_float_round_mode_32 0
		.amdhsa_float_round_mode_16_64 0
		.amdhsa_float_denorm_mode_32 3
		.amdhsa_float_denorm_mode_16_64 3
		.amdhsa_dx10_clamp 1
		.amdhsa_ieee_mode 1
		.amdhsa_fp16_overflow 0
		.amdhsa_exception_fp_ieee_invalid_op 0
		.amdhsa_exception_fp_denorm_src 0
		.amdhsa_exception_fp_ieee_div_zero 0
		.amdhsa_exception_fp_ieee_overflow 0
		.amdhsa_exception_fp_ieee_underflow 0
		.amdhsa_exception_fp_ieee_inexact 0
		.amdhsa_exception_int_div_zero 0
	.end_amdhsa_kernel
	.section	.text._ZL16dequantize_blockILi32ELi2EXadL_ZL15dequantize_q5_1PKvliR15HIP_vector_typeIfLj2EEEE6__halfEvS1_PT2_lllS2_IjLj3EElll,"axG",@progbits,_ZL16dequantize_blockILi32ELi2EXadL_ZL15dequantize_q5_1PKvliR15HIP_vector_typeIfLj2EEEE6__halfEvS1_PT2_lllS2_IjLj3EElll,comdat
.Lfunc_end43:
	.size	_ZL16dequantize_blockILi32ELi2EXadL_ZL15dequantize_q5_1PKvliR15HIP_vector_typeIfLj2EEEE6__halfEvS1_PT2_lllS2_IjLj3EElll, .Lfunc_end43-_ZL16dequantize_blockILi32ELi2EXadL_ZL15dequantize_q5_1PKvliR15HIP_vector_typeIfLj2EEEE6__halfEvS1_PT2_lllS2_IjLj3EElll
                                        ; -- End function
	.set _ZL16dequantize_blockILi32ELi2EXadL_ZL15dequantize_q5_1PKvliR15HIP_vector_typeIfLj2EEEE6__halfEvS1_PT2_lllS2_IjLj3EElll.num_vgpr, 18
	.set _ZL16dequantize_blockILi32ELi2EXadL_ZL15dequantize_q5_1PKvliR15HIP_vector_typeIfLj2EEEE6__halfEvS1_PT2_lllS2_IjLj3EElll.num_agpr, 0
	.set _ZL16dequantize_blockILi32ELi2EXadL_ZL15dequantize_q5_1PKvliR15HIP_vector_typeIfLj2EEEE6__halfEvS1_PT2_lllS2_IjLj3EElll.numbered_sgpr, 39
	.set _ZL16dequantize_blockILi32ELi2EXadL_ZL15dequantize_q5_1PKvliR15HIP_vector_typeIfLj2EEEE6__halfEvS1_PT2_lllS2_IjLj3EElll.num_named_barrier, 0
	.set _ZL16dequantize_blockILi32ELi2EXadL_ZL15dequantize_q5_1PKvliR15HIP_vector_typeIfLj2EEEE6__halfEvS1_PT2_lllS2_IjLj3EElll.private_seg_size, 0
	.set _ZL16dequantize_blockILi32ELi2EXadL_ZL15dequantize_q5_1PKvliR15HIP_vector_typeIfLj2EEEE6__halfEvS1_PT2_lllS2_IjLj3EElll.uses_vcc, 1
	.set _ZL16dequantize_blockILi32ELi2EXadL_ZL15dequantize_q5_1PKvliR15HIP_vector_typeIfLj2EEEE6__halfEvS1_PT2_lllS2_IjLj3EElll.uses_flat_scratch, 0
	.set _ZL16dequantize_blockILi32ELi2EXadL_ZL15dequantize_q5_1PKvliR15HIP_vector_typeIfLj2EEEE6__halfEvS1_PT2_lllS2_IjLj3EElll.has_dyn_sized_stack, 0
	.set _ZL16dequantize_blockILi32ELi2EXadL_ZL15dequantize_q5_1PKvliR15HIP_vector_typeIfLj2EEEE6__halfEvS1_PT2_lllS2_IjLj3EElll.has_recursion, 0
	.set _ZL16dequantize_blockILi32ELi2EXadL_ZL15dequantize_q5_1PKvliR15HIP_vector_typeIfLj2EEEE6__halfEvS1_PT2_lllS2_IjLj3EElll.has_indirect_call, 0
	.section	.AMDGPU.csdata,"",@progbits
; Kernel info:
; codeLenInByte = 784
; TotalNumSgprs: 43
; NumVgprs: 18
; ScratchSize: 0
; MemoryBound: 0
; FloatMode: 240
; IeeeMode: 1
; LDSByteSize: 0 bytes/workgroup (compile time only)
; SGPRBlocks: 5
; VGPRBlocks: 4
; NumSGPRsForWavesPerEU: 43
; NumVGPRsForWavesPerEU: 18
; Occupancy: 10
; WaveLimiterHint : 0
; COMPUTE_PGM_RSRC2:SCRATCH_EN: 0
; COMPUTE_PGM_RSRC2:USER_SGPR: 6
; COMPUTE_PGM_RSRC2:TRAP_HANDLER: 0
; COMPUTE_PGM_RSRC2:TGID_X_EN: 1
; COMPUTE_PGM_RSRC2:TGID_Y_EN: 1
; COMPUTE_PGM_RSRC2:TGID_Z_EN: 1
; COMPUTE_PGM_RSRC2:TIDIG_COMP_CNT: 0
	.section	.text._ZL16dequantize_blockILi32ELi1EXadL_ZL15dequantize_q8_0PKvliR15HIP_vector_typeIfLj2EEEE6__halfEvS1_PT2_lllS2_IjLj3EElll,"axG",@progbits,_ZL16dequantize_blockILi32ELi1EXadL_ZL15dequantize_q8_0PKvliR15HIP_vector_typeIfLj2EEEE6__halfEvS1_PT2_lllS2_IjLj3EElll,comdat
	.globl	_ZL16dequantize_blockILi32ELi1EXadL_ZL15dequantize_q8_0PKvliR15HIP_vector_typeIfLj2EEEE6__halfEvS1_PT2_lllS2_IjLj3EElll ; -- Begin function _ZL16dequantize_blockILi32ELi1EXadL_ZL15dequantize_q8_0PKvliR15HIP_vector_typeIfLj2EEEE6__halfEvS1_PT2_lllS2_IjLj3EElll
	.p2align	8
	.type	_ZL16dequantize_blockILi32ELi1EXadL_ZL15dequantize_q8_0PKvliR15HIP_vector_typeIfLj2EEEE6__halfEvS1_PT2_lllS2_IjLj3EElll,@function
_ZL16dequantize_blockILi32ELi1EXadL_ZL15dequantize_q8_0PKvliR15HIP_vector_typeIfLj2EEEE6__halfEvS1_PT2_lllS2_IjLj3EElll: ; @_ZL16dequantize_blockILi32ELi1EXadL_ZL15dequantize_q8_0PKvliR15HIP_vector_typeIfLj2EEEE6__halfEvS1_PT2_lllS2_IjLj3EElll
; %bb.0:
	s_mov_b32 s10, s7
	s_load_dword s7, s[4:5], 0x5c
	s_add_u32 s24, s4, 0x50
	s_addc_u32 s25, s5, 0
	v_mov_b32_e32 v1, 0
	v_mov_b32_e32 v2, s6
	s_waitcnt lgkmcnt(0)
	s_and_b32 s0, s7, 0xffff
	v_mad_u64_u32 v[1:2], s[0:1], s0, v2, v[0:1]
	s_load_dwordx4 s[0:3], s[4:5], 0x10
	v_lshlrev_b64 v[3:4], 1, v[1:2]
	s_waitcnt lgkmcnt(0)
	v_cmp_gt_i64_e32 vcc, s[0:1], v[3:4]
	s_and_saveexec_b64 s[12:13], vcc
	s_cbranch_execz .LBB44_7
; %bb.1:
	s_load_dwordx2 s[26:27], s[4:5], 0x20
	s_mov_b32 s11, 0
	v_mov_b32_e32 v4, s10
	v_mov_b32_e32 v5, s11
	v_cmp_le_i64_e32 vcc, s[2:3], v[4:5]
	s_cbranch_vccnz .LBB44_7
; %bb.2:
	s_load_dwordx4 s[20:23], s[4:5], 0x0
	s_load_dwordx8 s[12:19], s[4:5], 0x28
	s_load_dwordx2 s[28:29], s[4:5], 0x48
	s_mul_i32 s4, s3, s8
	s_mul_hi_u32 s5, s2, s8
	s_add_i32 s5, s5, s4
	s_mul_i32 s4, s2, s8
	s_add_u32 s4, s4, s10
	s_addc_u32 s5, s5, 0
	v_lshrrev_b64 v[1:2], 4, v[1:2]
	s_mul_i32 s5, s0, s5
	s_waitcnt lgkmcnt(0)
	s_mul_hi_u32 s15, s0, s4
	s_add_i32 s5, s15, s5
	s_mul_i32 s15, s1, s4
	v_and_b32_e32 v9, 30, v3
	s_add_i32 s5, s5, s15
	s_mul_i32 s4, s0, s4
	v_lshlrev_b64 v[3:4], 6, v[1:2]
	s_mul_i32 s6, s6, s7
	s_lshl_b64 s[4:5], s[4:5], 1
	v_add_u16_e32 v0, s6, v0
	v_mov_b32_e32 v7, s5
	v_add_co_u32_e32 v3, vcc, s4, v3
	v_and_b32_e32 v0, 15, v0
	v_addc_co_u32_e32 v4, vcc, v7, v4, vcc
	v_lshlrev_b32_e32 v0, 2, v0
	v_add_co_u32_e32 v0, vcc, v3, v0
	s_load_dword s30, s[24:25], 0x4
	v_addc_co_u32_e32 v3, vcc, 0, v4, vcc
	v_mov_b32_e32 v4, s23
	v_add_co_u32_e32 v0, vcc, s22, v0
	v_addc_co_u32_e32 v4, vcc, v4, v3, vcc
	s_mov_b32 s9, s11
	v_mov_b32_e32 v5, s8
	v_add_co_u32_e32 v3, vcc, 2, v0
	v_mov_b32_e32 v6, s9
	v_addc_co_u32_e32 v4, vcc, 0, v4, vcc
	s_waitcnt lgkmcnt(0)
	s_mul_i32 s4, s1, s30
	s_mul_hi_u32 s5, s0, s30
	s_mul_i32 s1, s2, s1
	s_mul_hi_u32 s6, s2, s0
	v_cmp_gt_i64_e32 vcc, s[26:27], v[5:6]
	s_add_i32 s5, s5, s4
	s_mul_i32 s4, s0, s30
	s_add_i32 s1, s6, s1
	s_mul_i32 s6, s3, s0
	s_lshl_b64 s[4:5], s[4:5], 1
	s_add_i32 s1, s1, s6
	s_mul_i32 s0, s2, s0
	v_cndmask_b32_e64 v0, 0, 1, vcc
	v_mov_b32_e32 v6, s3
	s_lshl_b64 s[6:7], s[0:1], 1
	s_sub_i32 s22, 0, s14
	v_cmp_ne_u32_e64 s[0:1], 1, v0
	v_mov_b32_e32 v0, s5
	v_mov_b32_e32 v5, s2
	s_branch .LBB44_4
.LBB44_3:                               ;   in Loop: Header=BB44_4 Depth=1
	s_add_u32 s10, s10, s30
	s_addc_u32 s11, s11, 0
	v_cmp_ge_i64_e32 vcc, s[10:11], v[5:6]
	v_add_co_u32_e64 v3, s[2:3], s4, v3
	v_addc_co_u32_e64 v4, s[2:3], v4, v0, s[2:3]
	s_cbranch_vccnz .LBB44_7
.LBB44_4:                               ; =>This Loop Header: Depth=1
                                        ;     Child Loop BB44_6 Depth 2
	s_and_b64 vcc, exec, s[0:1]
	s_cbranch_vccnz .LBB44_3
; %bb.5:                                ;   in Loop: Header=BB44_4 Depth=1
	s_load_dword s5, s[24:25], 0x8
	s_mul_i32 s2, s10, s17
	s_mul_hi_u32 s3, s10, s16
	s_add_i32 s2, s3, s2
	s_mul_i32 s3, s11, s16
	s_add_i32 s2, s2, s3
	s_mul_i32 s3, s10, s16
	s_waitcnt lgkmcnt(0)
	s_mul_i32 s14, s7, s5
	s_mul_hi_u32 s15, s6, s5
	s_mul_i32 s2, s2, 34
	s_mul_hi_u32 s33, s3, 34
	v_mov_b32_e32 v8, v4
	s_add_i32 s23, s15, s14
	s_mul_i32 s31, s6, s5
	s_add_i32 s33, s33, s2
	s_mul_i32 s34, s3, 34
	v_mov_b32_e32 v7, v3
	s_mov_b64 s[14:15], s[8:9]
.LBB44_6:                               ;   Parent Loop BB44_4 Depth=1
                                        ; =>  This Inner Loop Header: Depth=2
	s_mul_hi_u32 s2, s12, s14
	s_add_i32 s2, s14, s2
	s_lshr_b32 s2, s2, s13
	s_mul_i32 s3, s22, s2
	s_mul_i32 s35, s29, s2
	s_mul_hi_u32 s36, s28, s2
	s_mul_i32 s2, s28, s2
	s_add_i32 s3, s14, s3
	s_add_i32 s35, s36, s35
	s_mul_hi_u32 s36, s2, 34
	s_mul_i32 s37, s19, s3
	s_mul_hi_u32 s38, s18, s3
	s_mul_i32 s35, s35, 34
	s_mul_i32 s2, s2, 34
	;; [unrolled: 1-line block ×3, first 2 shown]
	s_add_i32 s37, s38, s37
	s_add_i32 s36, s36, s35
	s_mul_hi_u32 s35, s3, 34
	s_add_u32 s2, s20, s2
	s_mul_i32 s37, s37, 34
	s_mul_i32 s3, s3, 34
	s_addc_u32 s36, s21, s36
	s_add_i32 s35, s35, s37
	s_add_u32 s2, s2, s3
	s_addc_u32 s3, s36, s35
	s_add_u32 s2, s2, s34
	s_addc_u32 s3, s3, s33
	v_mad_u64_u32 v[10:11], s[2:3], v1, 34, s[2:3]
	s_add_u32 s14, s14, s5
	s_addc_u32 s15, s15, 0
	v_mad_u64_u32 v[12:13], s[2:3], v2, 34, v[11:12]
	v_add_co_u32_e32 v13, vcc, v10, v9
	v_addc_co_u32_e32 v14, vcc, 0, v12, vcc
	v_mov_b32_e32 v11, v12
	global_load_ushort v12, v[13:14], off offset:2
	global_load_ushort v15, v[10:11], off
	v_mov_b32_e32 v10, s26
	v_mov_b32_e32 v11, s27
	v_cmp_ge_i64_e32 vcc, s[14:15], v[10:11]
	v_mov_b32_e32 v13, s23
	s_and_b64 vcc, exec, vcc
	s_waitcnt vmcnt(1)
	v_bfe_i32 v10, v12, 0, 8
	v_ashrrev_i16_e32 v11, 8, v12
	v_cvt_f32_i32_sdwa v10, sext(v10) dst_sel:DWORD dst_unused:UNUSED_PAD src0_sel:WORD_0
	v_cvt_f32_i32_sdwa v11, sext(v11) dst_sel:DWORD dst_unused:UNUSED_PAD src0_sel:WORD_0
	s_waitcnt vmcnt(0)
	v_fma_mixlo_f16 v10, v15, v10, 0 op_sel_hi:[1,0,0]
	v_fma_mixhi_f16 v10, v15, v11, 0 op_sel_hi:[1,0,0]
	global_store_dword v[7:8], v10, off offset:-2
	v_add_co_u32_e64 v7, s[2:3], s31, v7
	v_addc_co_u32_e64 v8, s[2:3], v8, v13, s[2:3]
	s_cbranch_vccz .LBB44_6
	s_branch .LBB44_3
.LBB44_7:
	s_endpgm
	.section	.rodata,"a",@progbits
	.p2align	6, 0x0
	.amdhsa_kernel _ZL16dequantize_blockILi32ELi1EXadL_ZL15dequantize_q8_0PKvliR15HIP_vector_typeIfLj2EEEE6__halfEvS1_PT2_lllS2_IjLj3EElll
		.amdhsa_group_segment_fixed_size 0
		.amdhsa_private_segment_fixed_size 0
		.amdhsa_kernarg_size 336
		.amdhsa_user_sgpr_count 6
		.amdhsa_user_sgpr_private_segment_buffer 1
		.amdhsa_user_sgpr_dispatch_ptr 0
		.amdhsa_user_sgpr_queue_ptr 0
		.amdhsa_user_sgpr_kernarg_segment_ptr 1
		.amdhsa_user_sgpr_dispatch_id 0
		.amdhsa_user_sgpr_flat_scratch_init 0
		.amdhsa_user_sgpr_private_segment_size 0
		.amdhsa_uses_dynamic_stack 0
		.amdhsa_system_sgpr_private_segment_wavefront_offset 0
		.amdhsa_system_sgpr_workgroup_id_x 1
		.amdhsa_system_sgpr_workgroup_id_y 1
		.amdhsa_system_sgpr_workgroup_id_z 1
		.amdhsa_system_sgpr_workgroup_info 0
		.amdhsa_system_vgpr_workitem_id 0
		.amdhsa_next_free_vgpr 16
		.amdhsa_next_free_sgpr 39
		.amdhsa_reserve_vcc 1
		.amdhsa_reserve_flat_scratch 0
		.amdhsa_float_round_mode_32 0
		.amdhsa_float_round_mode_16_64 0
		.amdhsa_float_denorm_mode_32 3
		.amdhsa_float_denorm_mode_16_64 3
		.amdhsa_dx10_clamp 1
		.amdhsa_ieee_mode 1
		.amdhsa_fp16_overflow 0
		.amdhsa_exception_fp_ieee_invalid_op 0
		.amdhsa_exception_fp_denorm_src 0
		.amdhsa_exception_fp_ieee_div_zero 0
		.amdhsa_exception_fp_ieee_overflow 0
		.amdhsa_exception_fp_ieee_underflow 0
		.amdhsa_exception_fp_ieee_inexact 0
		.amdhsa_exception_int_div_zero 0
	.end_amdhsa_kernel
	.section	.text._ZL16dequantize_blockILi32ELi1EXadL_ZL15dequantize_q8_0PKvliR15HIP_vector_typeIfLj2EEEE6__halfEvS1_PT2_lllS2_IjLj3EElll,"axG",@progbits,_ZL16dequantize_blockILi32ELi1EXadL_ZL15dequantize_q8_0PKvliR15HIP_vector_typeIfLj2EEEE6__halfEvS1_PT2_lllS2_IjLj3EElll,comdat
.Lfunc_end44:
	.size	_ZL16dequantize_blockILi32ELi1EXadL_ZL15dequantize_q8_0PKvliR15HIP_vector_typeIfLj2EEEE6__halfEvS1_PT2_lllS2_IjLj3EElll, .Lfunc_end44-_ZL16dequantize_blockILi32ELi1EXadL_ZL15dequantize_q8_0PKvliR15HIP_vector_typeIfLj2EEEE6__halfEvS1_PT2_lllS2_IjLj3EElll
                                        ; -- End function
	.set _ZL16dequantize_blockILi32ELi1EXadL_ZL15dequantize_q8_0PKvliR15HIP_vector_typeIfLj2EEEE6__halfEvS1_PT2_lllS2_IjLj3EElll.num_vgpr, 16
	.set _ZL16dequantize_blockILi32ELi1EXadL_ZL15dequantize_q8_0PKvliR15HIP_vector_typeIfLj2EEEE6__halfEvS1_PT2_lllS2_IjLj3EElll.num_agpr, 0
	.set _ZL16dequantize_blockILi32ELi1EXadL_ZL15dequantize_q8_0PKvliR15HIP_vector_typeIfLj2EEEE6__halfEvS1_PT2_lllS2_IjLj3EElll.numbered_sgpr, 39
	.set _ZL16dequantize_blockILi32ELi1EXadL_ZL15dequantize_q8_0PKvliR15HIP_vector_typeIfLj2EEEE6__halfEvS1_PT2_lllS2_IjLj3EElll.num_named_barrier, 0
	.set _ZL16dequantize_blockILi32ELi1EXadL_ZL15dequantize_q8_0PKvliR15HIP_vector_typeIfLj2EEEE6__halfEvS1_PT2_lllS2_IjLj3EElll.private_seg_size, 0
	.set _ZL16dequantize_blockILi32ELi1EXadL_ZL15dequantize_q8_0PKvliR15HIP_vector_typeIfLj2EEEE6__halfEvS1_PT2_lllS2_IjLj3EElll.uses_vcc, 1
	.set _ZL16dequantize_blockILi32ELi1EXadL_ZL15dequantize_q8_0PKvliR15HIP_vector_typeIfLj2EEEE6__halfEvS1_PT2_lllS2_IjLj3EElll.uses_flat_scratch, 0
	.set _ZL16dequantize_blockILi32ELi1EXadL_ZL15dequantize_q8_0PKvliR15HIP_vector_typeIfLj2EEEE6__halfEvS1_PT2_lllS2_IjLj3EElll.has_dyn_sized_stack, 0
	.set _ZL16dequantize_blockILi32ELi1EXadL_ZL15dequantize_q8_0PKvliR15HIP_vector_typeIfLj2EEEE6__halfEvS1_PT2_lllS2_IjLj3EElll.has_recursion, 0
	.set _ZL16dequantize_blockILi32ELi1EXadL_ZL15dequantize_q8_0PKvliR15HIP_vector_typeIfLj2EEEE6__halfEvS1_PT2_lllS2_IjLj3EElll.has_indirect_call, 0
	.section	.AMDGPU.csdata,"",@progbits
; Kernel info:
; codeLenInByte = 768
; TotalNumSgprs: 43
; NumVgprs: 16
; ScratchSize: 0
; MemoryBound: 0
; FloatMode: 240
; IeeeMode: 1
; LDSByteSize: 0 bytes/workgroup (compile time only)
; SGPRBlocks: 5
; VGPRBlocks: 3
; NumSGPRsForWavesPerEU: 43
; NumVGPRsForWavesPerEU: 16
; Occupancy: 10
; WaveLimiterHint : 0
; COMPUTE_PGM_RSRC2:SCRATCH_EN: 0
; COMPUTE_PGM_RSRC2:USER_SGPR: 6
; COMPUTE_PGM_RSRC2:TRAP_HANDLER: 0
; COMPUTE_PGM_RSRC2:TGID_X_EN: 1
; COMPUTE_PGM_RSRC2:TGID_Y_EN: 1
; COMPUTE_PGM_RSRC2:TGID_Z_EN: 1
; COMPUTE_PGM_RSRC2:TIDIG_COMP_CNT: 0
	.section	.text._ZL13convert_unaryI14__hip_bfloat166__halfEvPKvPT0_lll15HIP_vector_typeIjLj3EElll,"axG",@progbits,_ZL13convert_unaryI14__hip_bfloat166__halfEvPKvPT0_lll15HIP_vector_typeIjLj3EElll,comdat
	.globl	_ZL13convert_unaryI14__hip_bfloat166__halfEvPKvPT0_lll15HIP_vector_typeIjLj3EElll ; -- Begin function _ZL13convert_unaryI14__hip_bfloat166__halfEvPKvPT0_lll15HIP_vector_typeIjLj3EElll
	.p2align	8
	.type	_ZL13convert_unaryI14__hip_bfloat166__halfEvPKvPT0_lll15HIP_vector_typeIjLj3EElll,@function
_ZL13convert_unaryI14__hip_bfloat166__halfEvPKvPT0_lll15HIP_vector_typeIjLj3EElll: ; @_ZL13convert_unaryI14__hip_bfloat166__halfEvPKvPT0_lll15HIP_vector_typeIjLj3EElll
; %bb.0:
	s_load_dword s0, s[4:5], 0x5c
	s_load_dwordx4 s[20:23], s[4:5], 0x10
	s_add_u32 s28, s4, 0x50
	s_addc_u32 s29, s5, 0
	v_mov_b32_e32 v1, 0
	s_waitcnt lgkmcnt(0)
	s_and_b32 s0, s0, 0xffff
	v_mov_b32_e32 v2, s6
	v_mad_u64_u32 v[0:1], s[0:1], s0, v2, v[0:1]
	v_cmp_gt_i64_e32 vcc, s[20:21], v[0:1]
	s_and_saveexec_b64 s[0:1], vcc
	s_cbranch_execz .LBB45_16
; %bb.1:
	s_mov_b32 s10, s7
	s_load_dwordx2 s[6:7], s[4:5], 0x20
	s_mov_b32 s11, 0
	v_mov_b32_e32 v2, s10
	v_mov_b32_e32 v3, s11
	v_cmp_le_i64_e32 vcc, s[22:23], v[2:3]
	s_cbranch_vccnz .LBB45_16
; %bb.2:
	s_load_dwordx4 s[24:27], s[4:5], 0x0
	s_load_dwordx8 s[12:19], s[4:5], 0x28
	s_load_dwordx2 s[30:31], s[4:5], 0x48
	v_lshlrev_b64 v[0:1], 1, v[0:1]
	s_mov_b32 s9, s11
	s_waitcnt lgkmcnt(0)
	v_mov_b32_e32 v3, s27
	v_add_co_u32_e32 v2, vcc, s26, v0
	v_mov_b32_e32 v4, s8
	v_addc_co_u32_e32 v3, vcc, v3, v1, vcc
	v_mov_b32_e32 v5, s9
	s_load_dword s15, s[28:29], 0x4
	s_mul_i32 s0, s22, s21
	s_mul_hi_u32 s1, s22, s20
	v_cmp_gt_i64_e32 vcc, s[6:7], v[4:5]
	s_add_i32 s0, s1, s0
	s_mul_i32 s1, s23, s20
	s_add_i32 s1, s0, s1
	s_mul_i32 s0, s22, s20
	v_cndmask_b32_e64 v6, 0, 1, vcc
	s_mov_b32 s58, s20
	s_mov_b32 s59, s21
	;; [unrolled: 1-line block ×4, first 2 shown]
	s_lshl_b64 s[4:5], s[20:21], 1
	s_lshl_b64 s[20:21], s[0:1], 1
	v_mov_b32_e32 v4, s22
	v_cmp_ne_u32_e64 s[0:1], 1, v6
	v_mov_b32_e32 v6, s6
	s_mov_b32 s33, s12
	s_mov_b32 s44, s12
	;; [unrolled: 1-line block ×17, first 2 shown]
	s_sub_i32 s64, 0, s14
	v_mov_b32_e32 v5, s23
	v_mov_b32_e32 v10, 0x4f800000
	;; [unrolled: 1-line block ×3, first 2 shown]
	s_mov_b64 s[26:27], s[10:11]
	s_branch .LBB45_4
.LBB45_3:                               ;   in Loop: Header=BB45_4 Depth=1
	s_waitcnt lgkmcnt(0)
	s_add_u32 s26, s26, s15
	s_addc_u32 s27, s27, 0
	v_cmp_ge_i64_e32 vcc, s[26:27], v[4:5]
	s_cbranch_vccnz .LBB45_16
.LBB45_4:                               ; =>This Loop Header: Depth=1
                                        ;     Child Loop BB45_10 Depth 2
                                        ;     Child Loop BB45_14 Depth 2
	s_and_b64 vcc, exec, s[0:1]
	s_cbranch_vccnz .LBB45_3
; %bb.5:                                ;   in Loop: Header=BB45_4 Depth=1
	s_load_dword s10, s[28:29], 0x8
	v_mov_b32_e32 v9, s7
	v_mov_b32_e32 v8, s6
	s_waitcnt lgkmcnt(0)
	s_add_u32 s34, s8, s10
	s_addc_u32 s35, 0, 0
	v_mov_b32_e32 v11, s34
	v_mov_b32_e32 v12, s35
	v_cmp_lt_i64_e64 s[2:3], s[34:35], v[8:9]
	v_cmp_gt_i64_e32 vcc, s[6:7], v[11:12]
	v_cndmask_b32_e64 v8, 0, 1, s[2:3]
	s_and_b64 s[36:37], vcc, exec
	v_readfirstlane_b32 s38, v8
	s_cselect_b32 s37, s6, s34
	s_cselect_b32 s36, s7, s35
	s_sub_u32 s37, s37, s38
	s_subb_u32 s36, s36, 0
	s_sub_u32 s38, s37, s34
	s_subb_u32 s35, s36, s35
	s_mov_b32 s34, s11
	s_cmp_lg_u64 s[34:35], 0
	s_cbranch_scc0 .LBB45_15
; %bb.6:                                ;   in Loop: Header=BB45_4 Depth=1
	v_cvt_f32_u32_e32 v8, s10
	s_sub_u32 s34, 0, s10
	s_subb_u32 s39, 0, 0
	v_mac_f32_e32 v8, 0, v10
	v_rcp_f32_e32 v8, v8
	v_mul_f32_e32 v8, 0x5f7ffffc, v8
	v_mul_f32_e32 v9, 0x2f800000, v8
	v_trunc_f32_e32 v9, v9
	v_mac_f32_e32 v8, 0xcf800000, v9
	v_cvt_u32_f32_e32 v9, v9
	v_cvt_u32_f32_e32 v8, v8
	v_readfirstlane_b32 s40, v9
	v_readfirstlane_b32 s36, v8
	s_mul_i32 s37, s34, s40
	s_mul_hi_u32 s42, s34, s36
	s_mul_i32 s41, s39, s36
	s_add_i32 s37, s42, s37
	s_mul_i32 s43, s34, s36
	s_add_i32 s37, s37, s41
	s_mul_hi_u32 s42, s36, s43
	s_mul_i32 s65, s36, s37
	s_mul_hi_u32 s41, s36, s37
	s_add_u32 s42, s42, s65
	s_addc_u32 s41, 0, s41
	s_mul_hi_u32 s66, s40, s43
	s_mul_i32 s43, s40, s43
	s_add_u32 s42, s42, s43
	s_mul_hi_u32 s65, s40, s37
	s_addc_u32 s41, s41, s66
	s_addc_u32 s42, s65, 0
	s_mul_i32 s37, s40, s37
	s_add_u32 s37, s41, s37
	s_addc_u32 s41, 0, s42
	s_add_u32 s42, s36, s37
	s_cselect_b64 s[36:37], -1, 0
	s_cmp_lg_u64 s[36:37], 0
	s_addc_u32 s40, s40, s41
	s_mul_i32 s36, s34, s40
	s_mul_hi_u32 s37, s34, s42
	s_add_i32 s36, s37, s36
	s_mul_i32 s39, s39, s42
	s_add_i32 s36, s36, s39
	s_mul_i32 s34, s34, s42
	s_mul_hi_u32 s39, s40, s34
	s_mul_i32 s41, s40, s34
	s_mul_i32 s65, s42, s36
	s_mul_hi_u32 s34, s42, s34
	s_mul_hi_u32 s43, s42, s36
	s_add_u32 s34, s34, s65
	s_addc_u32 s43, 0, s43
	s_add_u32 s34, s34, s41
	s_mul_hi_u32 s37, s40, s36
	s_addc_u32 s34, s43, s39
	s_addc_u32 s37, s37, 0
	s_mul_i32 s36, s40, s36
	s_add_u32 s34, s34, s36
	s_addc_u32 s39, 0, s37
	s_add_u32 s34, s42, s34
	s_cselect_b64 s[36:37], -1, 0
	s_cmp_lg_u64 s[36:37], 0
	s_addc_u32 s36, s40, s39
	s_mul_i32 s39, s38, s36
	s_mul_hi_u32 s40, s38, s34
	s_mul_hi_u32 s37, s38, s36
	s_add_u32 s39, s40, s39
	s_addc_u32 s37, 0, s37
	s_mul_hi_u32 s41, s35, s34
	s_mul_i32 s34, s35, s34
	s_add_u32 s34, s39, s34
	s_mul_hi_u32 s40, s35, s36
	s_addc_u32 s34, s37, s41
	s_addc_u32 s37, s40, 0
	s_mul_i32 s36, s35, s36
	s_add_u32 s39, s34, s36
	s_addc_u32 s40, 0, s37
	s_add_u32 s41, s39, 1
	s_addc_u32 s42, s40, 0
	s_add_u32 s43, s39, 2
	s_mul_i32 s34, s10, s40
	s_mul_hi_u32 s36, s10, s39
	s_addc_u32 s65, s40, 0
	s_add_i32 s34, s36, s34
	s_mul_i32 s36, s10, s39
	s_sub_u32 s66, s38, s36
	s_cselect_b64 s[36:37], -1, 0
	s_cmp_lg_u64 s[36:37], 0
	s_subb_u32 s36, s35, s34
	s_sub_u32 s37, s66, s10
	s_cselect_b64 s[34:35], -1, 0
	s_cmp_lg_u64 s[34:35], 0
	s_subb_u32 s34, s36, 0
	s_cmp_ge_u32 s37, s10
	s_cselect_b32 s35, -1, 0
	s_cmp_eq_u32 s34, 0
	s_cselect_b32 s34, s35, -1
	s_cmp_lg_u32 s34, 0
	s_cselect_b32 s34, s43, s41
	s_cselect_b32 s35, s65, s42
	s_cmp_ge_u32 s66, s10
	s_cselect_b32 s37, -1, 0
	s_cmp_eq_u32 s36, 0
	s_cselect_b32 s36, s37, -1
	s_cmp_lg_u32 s36, 0
	s_cselect_b32 s37, s35, s40
	s_cselect_b32 s36, s34, s39
	s_cbranch_execnz .LBB45_8
.LBB45_7:                               ;   in Loop: Header=BB45_4 Depth=1
	v_cvt_f32_u32_e32 v8, s10
	s_sub_i32 s34, 0, s10
	v_rcp_iflag_f32_e32 v8, v8
	v_mul_f32_e32 v8, 0x4f7ffffe, v8
	v_cvt_u32_f32_e32 v8, v8
	v_readfirstlane_b32 s35, v8
	s_mul_i32 s34, s34, s35
	s_mul_hi_u32 s34, s35, s34
	s_add_i32 s35, s35, s34
	s_mul_hi_u32 s34, s38, s35
	s_mul_i32 s36, s34, s10
	s_sub_i32 s36, s38, s36
	s_add_i32 s35, s34, 1
	s_sub_i32 s37, s36, s10
	s_cmp_ge_u32 s36, s10
	s_cselect_b32 s34, s35, s34
	s_cselect_b32 s36, s37, s36
	s_add_i32 s35, s34, 1
	s_cmp_ge_u32 s36, s10
	s_cselect_b32 s36, s35, s34
	s_mov_b32 s37, s11
.LBB45_8:                               ;   in Loop: Header=BB45_4 Depth=1
	s_mul_i32 s34, s26, s17
	s_mul_hi_u32 s35, s26, s16
	s_add_i32 s34, s35, s34
	s_mul_i32 s35, s27, s16
	s_add_i32 s35, s34, s35
	s_and_b64 s[2:3], s[2:3], exec
	s_cselect_b32 s2, 2, 1
	s_add_u32 s36, s2, s36
	s_addc_u32 s37, 0, s37
	v_cmp_lt_u64_e64 s[38:39], s[36:37], 2
	s_mul_i32 s34, s26, s16
	s_mov_b64 s[2:3], -1
	s_and_b64 vcc, exec, s[38:39]
	s_mov_b64 s[40:41], s[8:9]
	s_cbranch_vccnz .LBB45_12
; %bb.9:                                ;   in Loop: Header=BB45_4 Depth=1
	s_and_b32 s38, s36, -2
	s_add_u32 s67, s8, s10
	s_mov_b32 s39, s37
	s_addc_u32 s68, 0, 0
	s_lshl_b64 s[40:41], s[10:11], 1
	s_mov_b32 s65, s26
	s_mov_b32 s66, s27
	s_mov_b32 s69, s62
	s_mov_b32 s70, s63
	s_mov_b32 s71, s40
	s_mov_b32 s72, s41
	s_mov_b64 s[42:43], s[38:39]
.LBB45_10:                              ;   Parent Loop BB45_4 Depth=1
                                        ; =>  This Inner Loop Header: Depth=2
	s_mul_hi_u32 s2, s69, s33
	s_mul_i32 s3, s67, s57
	s_mul_hi_u32 s73, s67, s56
	s_mul_i32 s74, s69, s55
	;; [unrolled: 2-line block ×3, first 2 shown]
	s_mul_hi_u32 s78, s67, s44
	s_add_i32 s3, s73, s3
	s_add_i32 s2, s2, s69
	s_mul_i32 s77, s70, s54
	s_add_i32 s73, s75, s74
	s_add_i32 s78, s78, s67
	;; [unrolled: 1-line block ×3, first 2 shown]
	s_lshr_b32 s3, s2, s45
	s_add_i32 s73, s73, s77
	s_lshr_b32 s75, s78, s46
	s_mul_i32 s74, s31, s3
	s_mul_hi_u32 s76, s30, s3
	s_mul_i32 s77, s3, s14
	s_mul_i32 s2, s30, s3
	;; [unrolled: 1-line block ×3, first 2 shown]
	s_mul_hi_u32 s79, s48, s75
	s_add_i32 s3, s76, s74
	s_mul_i32 s76, s75, s47
	s_sub_i32 s77, s69, s77
	s_mul_i32 s74, s48, s75
	s_add_i32 s75, s79, s78
	s_sub_i32 s78, s67, s76
	s_mul_i32 s79, s51, s77
	s_mul_hi_u32 s81, s50, s77
	s_mul_i32 s76, s50, s77
	s_add_i32 s77, s81, s79
	s_mul_i32 s79, s53, s78
	s_mul_hi_u32 s81, s52, s78
	s_add_i32 s79, s81, s79
	s_mul_i32 s81, s69, s54
	s_add_u32 s82, s81, s26
	s_addc_u32 s73, s73, s27
	s_mul_i32 s81, s67, s56
	s_add_u32 s84, s81, s65
	s_mul_i32 s81, s82, s59
	s_mul_hi_u32 s83, s82, s58
	s_addc_u32 s80, s80, s66
	s_add_i32 s81, s83, s81
	s_mul_i32 s83, s84, s61
	s_mul_hi_u32 s85, s84, s60
	s_add_i32 s83, s85, s83
	s_mul_i32 s73, s73, s58
	s_mul_i32 s80, s80, s60
	s_lshl_b64 s[2:3], s[2:3], 1
	s_add_i32 s81, s81, s73
	s_add_i32 s83, s83, s80
	s_add_u32 s73, s24, s2
	s_addc_u32 s80, s25, s3
	s_lshl_b64 s[2:3], s[74:75], 1
	s_add_u32 s74, s24, s2
	s_addc_u32 s75, s25, s3
	s_lshl_b64 s[2:3], s[76:77], 1
	s_add_u32 s73, s73, s2
	s_mul_i32 s78, s52, s78
	s_addc_u32 s76, s80, s3
	s_lshl_b64 s[2:3], s[78:79], 1
	s_add_u32 s74, s74, s2
	s_addc_u32 s75, s75, s3
	s_lshl_b64 s[2:3], s[34:35], 1
	s_add_u32 s73, s73, s2
	s_addc_u32 s76, s76, s3
	v_mov_b32_e32 v9, s76
	s_add_u32 s2, s74, s2
	v_add_co_u32_e32 v8, vcc, s73, v0
	s_addc_u32 s3, s75, s3
	v_addc_co_u32_e32 v9, vcc, v9, v1, vcc
	v_mov_b32_e32 v11, s3
	global_load_ushort v13, v[8:9], off
	v_add_co_u32_e32 v8, vcc, s2, v0
	v_addc_co_u32_e32 v9, vcc, v11, v1, vcc
	global_load_ushort v14, v[8:9], off
	s_mul_i32 s80, s82, s58
	s_mul_i32 s82, s84, s60
	s_lshl_b64 s[2:3], s[80:81], 1
	s_lshl_b64 s[74:75], s[82:83], 1
	s_add_u32 s67, s67, s71
	s_addc_u32 s68, s68, s72
	s_add_u32 s69, s69, s40
	s_addc_u32 s70, s70, s41
	s_add_u32 s42, s42, -2
	v_mov_b32_e32 v9, s3
	v_add_co_u32_e64 v11, s[2:3], s2, v2
	s_addc_u32 s43, s43, -1
	v_mov_b32_e32 v15, s75
	v_add_co_u32_e32 v8, vcc, s74, v2
	v_addc_co_u32_e64 v12, s[2:3], v3, v9, s[2:3]
	s_cmp_lg_u64 s[42:43], 0
	v_addc_co_u32_e32 v9, vcc, v3, v15, vcc
	s_waitcnt vmcnt(1)
	v_lshlrev_b32_e32 v13, 16, v13
	v_cvt_f16_f32_e32 v13, v13
	s_waitcnt vmcnt(0)
	v_lshlrev_b32_e32 v14, 16, v14
	v_cvt_f16_f32_e32 v14, v14
	global_store_short v[11:12], v13, off
	global_store_short v[8:9], v14, off
	s_cbranch_scc1 .LBB45_10
; %bb.11:                               ;   in Loop: Header=BB45_4 Depth=1
	s_mul_i32 s2, s39, s10
	s_mul_hi_u32 s3, s38, s10
	s_add_i32 s3, s3, s2
	s_mul_i32 s2, s38, s10
	s_add_u32 s40, s2, s8
	s_addc_u32 s41, s3, 0
	s_cmp_lg_u64 s[36:37], s[38:39]
	s_cselect_b64 s[2:3], -1, 0
.LBB45_12:                              ;   in Loop: Header=BB45_4 Depth=1
	s_and_b64 vcc, exec, s[2:3]
	s_cbranch_vccz .LBB45_3
; %bb.13:                               ;   in Loop: Header=BB45_4 Depth=1
	s_mul_i32 s2, s22, s41
	s_mul_hi_u32 s3, s22, s40
	s_add_i32 s2, s3, s2
	s_mul_i32 s3, s23, s40
	s_add_i32 s2, s2, s3
	s_mul_i32 s3, s22, s40
	s_add_u32 s36, s26, s3
	v_mov_b32_e32 v8, s36
	s_addc_u32 s37, s27, s2
	v_mad_u64_u32 v[8:9], s[2:3], s4, v8, v[2:3]
	s_mul_i32 s2, s5, s36
	s_mul_i32 s3, s4, s37
	s_add_i32 s3, s3, s2
	v_add_u32_e32 v9, s3, v9
	s_mul_i32 s2, s21, s10
	s_mul_hi_u32 s3, s20, s10
	s_add_i32 s2, s3, s2
	s_mul_i32 s36, s20, s10
	v_mov_b32_e32 v11, s2
.LBB45_14:                              ;   Parent Loop BB45_4 Depth=1
                                        ; =>  This Inner Loop Header: Depth=2
	s_mul_hi_u32 s2, s12, s40
	s_add_i32 s2, s40, s2
	s_lshr_b32 s2, s2, s13
	s_mul_i32 s3, s64, s2
	s_mul_i32 s37, s31, s2
	s_mul_hi_u32 s38, s30, s2
	s_add_i32 s39, s40, s3
	s_mul_i32 s2, s30, s2
	s_add_i32 s3, s38, s37
	s_mul_i32 s37, s19, s39
	s_mul_hi_u32 s42, s18, s39
	s_mul_i32 s38, s18, s39
	s_lshl_b64 s[2:3], s[2:3], 1
	s_add_i32 s39, s42, s37
	s_add_u32 s37, s24, s2
	s_addc_u32 s42, s25, s3
	s_lshl_b64 s[2:3], s[38:39], 1
	s_add_u32 s37, s37, s2
	s_addc_u32 s38, s42, s3
	s_lshl_b64 s[2:3], s[34:35], 1
	s_add_u32 s2, s37, s2
	s_addc_u32 s3, s38, s3
	v_mov_b32_e32 v13, s3
	v_add_co_u32_e32 v12, vcc, s2, v0
	v_addc_co_u32_e32 v13, vcc, v13, v1, vcc
	global_load_ushort v12, v[12:13], off
	s_add_u32 s40, s40, s10
	s_addc_u32 s41, s41, 0
	v_cmp_ge_i64_e32 vcc, s[40:41], v[6:7]
	s_and_b64 vcc, exec, vcc
	s_waitcnt vmcnt(0)
	v_lshlrev_b32_e32 v12, 16, v12
	v_cvt_f16_f32_e32 v12, v12
	global_store_short v[8:9], v12, off
	v_add_co_u32_e64 v8, s[2:3], s36, v8
	v_addc_co_u32_e64 v9, s[2:3], v9, v11, s[2:3]
	s_cbranch_vccz .LBB45_14
	s_branch .LBB45_3
.LBB45_15:                              ;   in Loop: Header=BB45_4 Depth=1
                                        ; implicit-def: $sgpr36_sgpr37
	s_branch .LBB45_7
.LBB45_16:
	s_endpgm
	.section	.rodata,"a",@progbits
	.p2align	6, 0x0
	.amdhsa_kernel _ZL13convert_unaryI14__hip_bfloat166__halfEvPKvPT0_lll15HIP_vector_typeIjLj3EElll
		.amdhsa_group_segment_fixed_size 0
		.amdhsa_private_segment_fixed_size 0
		.amdhsa_kernarg_size 336
		.amdhsa_user_sgpr_count 6
		.amdhsa_user_sgpr_private_segment_buffer 1
		.amdhsa_user_sgpr_dispatch_ptr 0
		.amdhsa_user_sgpr_queue_ptr 0
		.amdhsa_user_sgpr_kernarg_segment_ptr 1
		.amdhsa_user_sgpr_dispatch_id 0
		.amdhsa_user_sgpr_flat_scratch_init 0
		.amdhsa_user_sgpr_private_segment_size 0
		.amdhsa_uses_dynamic_stack 0
		.amdhsa_system_sgpr_private_segment_wavefront_offset 0
		.amdhsa_system_sgpr_workgroup_id_x 1
		.amdhsa_system_sgpr_workgroup_id_y 1
		.amdhsa_system_sgpr_workgroup_id_z 1
		.amdhsa_system_sgpr_workgroup_info 0
		.amdhsa_system_vgpr_workitem_id 0
		.amdhsa_next_free_vgpr 16
		.amdhsa_next_free_sgpr 86
		.amdhsa_reserve_vcc 1
		.amdhsa_reserve_flat_scratch 0
		.amdhsa_float_round_mode_32 0
		.amdhsa_float_round_mode_16_64 0
		.amdhsa_float_denorm_mode_32 3
		.amdhsa_float_denorm_mode_16_64 3
		.amdhsa_dx10_clamp 1
		.amdhsa_ieee_mode 1
		.amdhsa_fp16_overflow 0
		.amdhsa_exception_fp_ieee_invalid_op 0
		.amdhsa_exception_fp_denorm_src 0
		.amdhsa_exception_fp_ieee_div_zero 0
		.amdhsa_exception_fp_ieee_overflow 0
		.amdhsa_exception_fp_ieee_underflow 0
		.amdhsa_exception_fp_ieee_inexact 0
		.amdhsa_exception_int_div_zero 0
	.end_amdhsa_kernel
	.section	.text._ZL13convert_unaryI14__hip_bfloat166__halfEvPKvPT0_lll15HIP_vector_typeIjLj3EElll,"axG",@progbits,_ZL13convert_unaryI14__hip_bfloat166__halfEvPKvPT0_lll15HIP_vector_typeIjLj3EElll,comdat
.Lfunc_end45:
	.size	_ZL13convert_unaryI14__hip_bfloat166__halfEvPKvPT0_lll15HIP_vector_typeIjLj3EElll, .Lfunc_end45-_ZL13convert_unaryI14__hip_bfloat166__halfEvPKvPT0_lll15HIP_vector_typeIjLj3EElll
                                        ; -- End function
	.set _ZL13convert_unaryI14__hip_bfloat166__halfEvPKvPT0_lll15HIP_vector_typeIjLj3EElll.num_vgpr, 16
	.set _ZL13convert_unaryI14__hip_bfloat166__halfEvPKvPT0_lll15HIP_vector_typeIjLj3EElll.num_agpr, 0
	.set _ZL13convert_unaryI14__hip_bfloat166__halfEvPKvPT0_lll15HIP_vector_typeIjLj3EElll.numbered_sgpr, 86
	.set _ZL13convert_unaryI14__hip_bfloat166__halfEvPKvPT0_lll15HIP_vector_typeIjLj3EElll.num_named_barrier, 0
	.set _ZL13convert_unaryI14__hip_bfloat166__halfEvPKvPT0_lll15HIP_vector_typeIjLj3EElll.private_seg_size, 0
	.set _ZL13convert_unaryI14__hip_bfloat166__halfEvPKvPT0_lll15HIP_vector_typeIjLj3EElll.uses_vcc, 1
	.set _ZL13convert_unaryI14__hip_bfloat166__halfEvPKvPT0_lll15HIP_vector_typeIjLj3EElll.uses_flat_scratch, 0
	.set _ZL13convert_unaryI14__hip_bfloat166__halfEvPKvPT0_lll15HIP_vector_typeIjLj3EElll.has_dyn_sized_stack, 0
	.set _ZL13convert_unaryI14__hip_bfloat166__halfEvPKvPT0_lll15HIP_vector_typeIjLj3EElll.has_recursion, 0
	.set _ZL13convert_unaryI14__hip_bfloat166__halfEvPKvPT0_lll15HIP_vector_typeIjLj3EElll.has_indirect_call, 0
	.section	.AMDGPU.csdata,"",@progbits
; Kernel info:
; codeLenInByte = 1836
; TotalNumSgprs: 90
; NumVgprs: 16
; ScratchSize: 0
; MemoryBound: 0
; FloatMode: 240
; IeeeMode: 1
; LDSByteSize: 0 bytes/workgroup (compile time only)
; SGPRBlocks: 11
; VGPRBlocks: 3
; NumSGPRsForWavesPerEU: 90
; NumVGPRsForWavesPerEU: 16
; Occupancy: 8
; WaveLimiterHint : 0
; COMPUTE_PGM_RSRC2:SCRATCH_EN: 0
; COMPUTE_PGM_RSRC2:USER_SGPR: 6
; COMPUTE_PGM_RSRC2:TRAP_HANDLER: 0
; COMPUTE_PGM_RSRC2:TGID_X_EN: 1
; COMPUTE_PGM_RSRC2:TGID_Y_EN: 1
; COMPUTE_PGM_RSRC2:TGID_Z_EN: 1
; COMPUTE_PGM_RSRC2:TIDIG_COMP_CNT: 0
	.section	.text._ZL13convert_unaryIf14__hip_bfloat16EvPKvPT0_lll15HIP_vector_typeIjLj3EElll,"axG",@progbits,_ZL13convert_unaryIf14__hip_bfloat16EvPKvPT0_lll15HIP_vector_typeIjLj3EElll,comdat
	.globl	_ZL13convert_unaryIf14__hip_bfloat16EvPKvPT0_lll15HIP_vector_typeIjLj3EElll ; -- Begin function _ZL13convert_unaryIf14__hip_bfloat16EvPKvPT0_lll15HIP_vector_typeIjLj3EElll
	.p2align	8
	.type	_ZL13convert_unaryIf14__hip_bfloat16EvPKvPT0_lll15HIP_vector_typeIjLj3EElll,@function
_ZL13convert_unaryIf14__hip_bfloat16EvPKvPT0_lll15HIP_vector_typeIjLj3EElll: ; @_ZL13convert_unaryIf14__hip_bfloat16EvPKvPT0_lll15HIP_vector_typeIjLj3EElll
; %bb.0:
	s_mov_b32 s10, s7
	s_load_dword s7, s[4:5], 0x5c
	s_load_dwordx4 s[0:3], s[4:5], 0x10
	s_add_u32 s24, s4, 0x50
	s_addc_u32 s25, s5, 0
	v_mov_b32_e32 v1, 0
	s_waitcnt lgkmcnt(0)
	s_and_b32 s7, s7, 0xffff
	v_mov_b32_e32 v2, s6
	v_mad_u64_u32 v[2:3], s[6:7], s7, v2, v[0:1]
	v_cmp_gt_i64_e32 vcc, s[0:1], v[2:3]
	s_and_saveexec_b64 s[6:7], vcc
	s_cbranch_execz .LBB46_7
; %bb.1:
	s_load_dwordx2 s[26:27], s[4:5], 0x20
	s_mov_b32 s11, 0
	v_mov_b32_e32 v0, s10
	v_mov_b32_e32 v1, s11
	v_cmp_le_i64_e32 vcc, s[2:3], v[0:1]
	s_cbranch_vccnz .LBB46_7
; %bb.2:
	s_load_dwordx4 s[20:23], s[4:5], 0x0
	s_load_dwordx8 s[12:19], s[4:5], 0x28
	s_load_dwordx2 s[6:7], s[4:5], 0x48
	s_mul_i32 s4, s3, s8
	s_mul_hi_u32 s5, s2, s8
	s_add_i32 s5, s5, s4
	s_mul_i32 s4, s2, s8
	s_add_u32 s4, s4, s10
	s_addc_u32 s5, s5, 0
	s_mul_i32 s5, s0, s5
	s_waitcnt lgkmcnt(0)
	s_mul_hi_u32 s15, s0, s4
	s_add_i32 s5, s15, s5
	s_mul_i32 s15, s1, s4
	s_add_i32 s5, s5, s15
	s_mul_i32 s4, s0, s4
	s_load_dword s28, s[24:25], 0x4
	s_lshl_b64 s[4:5], s[4:5], 1
	v_lshlrev_b64 v[0:1], 1, v[2:3]
	s_add_u32 s4, s22, s4
	s_addc_u32 s5, s23, s5
	s_mov_b32 s9, s11
	v_mov_b32_e32 v4, s8
	v_mov_b32_e32 v6, s5
	v_add_co_u32_e32 v0, vcc, s4, v0
	v_mov_b32_e32 v5, s9
	v_addc_co_u32_e32 v1, vcc, v6, v1, vcc
	s_waitcnt lgkmcnt(0)
	s_mul_i32 s4, s1, s28
	s_mul_i32 s1, s2, s1
	s_mul_hi_u32 s15, s2, s0
	v_cmp_gt_i64_e32 vcc, s[26:27], v[4:5]
	s_mul_hi_u32 s5, s0, s28
	s_add_i32 s1, s15, s1
	s_mul_i32 s15, s3, s0
	s_add_i32 s5, s5, s4
	s_mul_i32 s4, s0, s28
	;; [unrolled: 2-line block ×3, first 2 shown]
	v_cndmask_b32_e64 v4, 0, 1, vcc
	s_lshl_b64 s[4:5], s[4:5], 1
	s_lshl_b64 s[22:23], s[0:1], 1
	v_cmp_ne_u32_e64 s[0:1], 1, v4
	v_lshlrev_b64 v[2:3], 2, v[2:3]
	v_mov_b32_e32 v5, s3
	v_mov_b32_e32 v6, s26
	s_sub_i32 s29, 0, s14
	s_movk_i32 s30, 0x7fff
	v_mov_b32_e32 v10, s5
	v_mov_b32_e32 v4, s2
	;; [unrolled: 1-line block ×3, first 2 shown]
	s_branch .LBB46_4
.LBB46_3:                               ;   in Loop: Header=BB46_4 Depth=1
	s_add_u32 s10, s10, s28
	s_addc_u32 s11, s11, 0
	v_cmp_ge_i64_e32 vcc, s[10:11], v[4:5]
	v_add_co_u32_e64 v0, s[2:3], s4, v0
	v_addc_co_u32_e64 v1, s[2:3], v1, v10, s[2:3]
	s_cbranch_vccnz .LBB46_7
.LBB46_4:                               ; =>This Loop Header: Depth=1
                                        ;     Child Loop BB46_6 Depth 2
	s_and_b64 vcc, exec, s[0:1]
	s_cbranch_vccnz .LBB46_3
; %bb.5:                                ;   in Loop: Header=BB46_4 Depth=1
	s_load_dword s5, s[24:25], 0x8
	s_mul_i32 s2, s10, s17
	s_mul_hi_u32 s3, s10, s16
	s_add_i32 s2, s3, s2
	s_mul_i32 s3, s11, s16
	s_waitcnt lgkmcnt(0)
	s_mul_i32 s14, s23, s5
	s_mul_hi_u32 s15, s22, s5
	s_add_i32 s3, s2, s3
	s_mul_i32 s2, s10, s16
	s_add_i32 s26, s15, s14
	v_mov_b32_e32 v9, v1
	s_mul_i32 s31, s22, s5
	s_lshl_b64 s[14:15], s[2:3], 2
	v_mov_b32_e32 v11, s26
	v_mov_b32_e32 v8, v0
	s_mov_b64 s[26:27], s[8:9]
.LBB46_6:                               ;   Parent Loop BB46_4 Depth=1
                                        ; =>  This Inner Loop Header: Depth=2
	s_mul_hi_u32 s2, s12, s26
	s_add_i32 s2, s26, s2
	s_lshr_b32 s2, s2, s13
	s_mul_i32 s3, s29, s2
	s_mul_i32 s33, s7, s2
	s_mul_hi_u32 s34, s6, s2
	s_add_i32 s35, s26, s3
	s_mul_i32 s2, s6, s2
	s_add_i32 s3, s34, s33
	s_mul_i32 s33, s19, s35
	s_mul_hi_u32 s36, s18, s35
	s_mul_i32 s34, s18, s35
	s_lshl_b64 s[2:3], s[2:3], 2
	s_add_i32 s35, s36, s33
	s_add_u32 s33, s20, s2
	s_addc_u32 s36, s21, s3
	s_lshl_b64 s[2:3], s[34:35], 2
	s_add_u32 s2, s33, s2
	s_addc_u32 s3, s36, s3
	s_add_u32 s2, s2, s14
	s_addc_u32 s3, s3, s15
	v_mov_b32_e32 v13, s3
	v_add_co_u32_e32 v12, vcc, s2, v2
	v_addc_co_u32_e32 v13, vcc, v13, v3, vcc
	global_load_dword v12, v[12:13], off
	s_add_u32 s26, s26, s5
	s_addc_u32 s27, s27, 0
	v_cmp_ge_i64_e32 vcc, s[26:27], v[6:7]
	s_and_b64 vcc, exec, vcc
	s_waitcnt vmcnt(0)
	v_bfe_u32 v13, v12, 16, 1
	v_or_b32_e32 v14, 0x400000, v12
	v_add3_u32 v13, v13, v12, s30
	v_cmp_u_f32_e64 s[2:3], v12, v12
	v_cndmask_b32_e64 v12, v13, v14, s[2:3]
	global_store_short_d16_hi v[8:9], v12, off
	v_add_co_u32_e64 v8, s[2:3], s31, v8
	v_addc_co_u32_e64 v9, s[2:3], v9, v11, s[2:3]
	s_cbranch_vccz .LBB46_6
	s_branch .LBB46_3
.LBB46_7:
	s_endpgm
	.section	.rodata,"a",@progbits
	.p2align	6, 0x0
	.amdhsa_kernel _ZL13convert_unaryIf14__hip_bfloat16EvPKvPT0_lll15HIP_vector_typeIjLj3EElll
		.amdhsa_group_segment_fixed_size 0
		.amdhsa_private_segment_fixed_size 0
		.amdhsa_kernarg_size 336
		.amdhsa_user_sgpr_count 6
		.amdhsa_user_sgpr_private_segment_buffer 1
		.amdhsa_user_sgpr_dispatch_ptr 0
		.amdhsa_user_sgpr_queue_ptr 0
		.amdhsa_user_sgpr_kernarg_segment_ptr 1
		.amdhsa_user_sgpr_dispatch_id 0
		.amdhsa_user_sgpr_flat_scratch_init 0
		.amdhsa_user_sgpr_private_segment_size 0
		.amdhsa_uses_dynamic_stack 0
		.amdhsa_system_sgpr_private_segment_wavefront_offset 0
		.amdhsa_system_sgpr_workgroup_id_x 1
		.amdhsa_system_sgpr_workgroup_id_y 1
		.amdhsa_system_sgpr_workgroup_id_z 1
		.amdhsa_system_sgpr_workgroup_info 0
		.amdhsa_system_vgpr_workitem_id 0
		.amdhsa_next_free_vgpr 15
		.amdhsa_next_free_sgpr 37
		.amdhsa_reserve_vcc 1
		.amdhsa_reserve_flat_scratch 0
		.amdhsa_float_round_mode_32 0
		.amdhsa_float_round_mode_16_64 0
		.amdhsa_float_denorm_mode_32 3
		.amdhsa_float_denorm_mode_16_64 3
		.amdhsa_dx10_clamp 1
		.amdhsa_ieee_mode 1
		.amdhsa_fp16_overflow 0
		.amdhsa_exception_fp_ieee_invalid_op 0
		.amdhsa_exception_fp_denorm_src 0
		.amdhsa_exception_fp_ieee_div_zero 0
		.amdhsa_exception_fp_ieee_overflow 0
		.amdhsa_exception_fp_ieee_underflow 0
		.amdhsa_exception_fp_ieee_inexact 0
		.amdhsa_exception_int_div_zero 0
	.end_amdhsa_kernel
	.section	.text._ZL13convert_unaryIf14__hip_bfloat16EvPKvPT0_lll15HIP_vector_typeIjLj3EElll,"axG",@progbits,_ZL13convert_unaryIf14__hip_bfloat16EvPKvPT0_lll15HIP_vector_typeIjLj3EElll,comdat
.Lfunc_end46:
	.size	_ZL13convert_unaryIf14__hip_bfloat16EvPKvPT0_lll15HIP_vector_typeIjLj3EElll, .Lfunc_end46-_ZL13convert_unaryIf14__hip_bfloat16EvPKvPT0_lll15HIP_vector_typeIjLj3EElll
                                        ; -- End function
	.set _ZL13convert_unaryIf14__hip_bfloat16EvPKvPT0_lll15HIP_vector_typeIjLj3EElll.num_vgpr, 15
	.set _ZL13convert_unaryIf14__hip_bfloat16EvPKvPT0_lll15HIP_vector_typeIjLj3EElll.num_agpr, 0
	.set _ZL13convert_unaryIf14__hip_bfloat16EvPKvPT0_lll15HIP_vector_typeIjLj3EElll.numbered_sgpr, 37
	.set _ZL13convert_unaryIf14__hip_bfloat16EvPKvPT0_lll15HIP_vector_typeIjLj3EElll.num_named_barrier, 0
	.set _ZL13convert_unaryIf14__hip_bfloat16EvPKvPT0_lll15HIP_vector_typeIjLj3EElll.private_seg_size, 0
	.set _ZL13convert_unaryIf14__hip_bfloat16EvPKvPT0_lll15HIP_vector_typeIjLj3EElll.uses_vcc, 1
	.set _ZL13convert_unaryIf14__hip_bfloat16EvPKvPT0_lll15HIP_vector_typeIjLj3EElll.uses_flat_scratch, 0
	.set _ZL13convert_unaryIf14__hip_bfloat16EvPKvPT0_lll15HIP_vector_typeIjLj3EElll.has_dyn_sized_stack, 0
	.set _ZL13convert_unaryIf14__hip_bfloat16EvPKvPT0_lll15HIP_vector_typeIjLj3EElll.has_recursion, 0
	.set _ZL13convert_unaryIf14__hip_bfloat16EvPKvPT0_lll15HIP_vector_typeIjLj3EElll.has_indirect_call, 0
	.section	.AMDGPU.csdata,"",@progbits
; Kernel info:
; codeLenInByte = 652
; TotalNumSgprs: 41
; NumVgprs: 15
; ScratchSize: 0
; MemoryBound: 0
; FloatMode: 240
; IeeeMode: 1
; LDSByteSize: 0 bytes/workgroup (compile time only)
; SGPRBlocks: 5
; VGPRBlocks: 3
; NumSGPRsForWavesPerEU: 41
; NumVGPRsForWavesPerEU: 15
; Occupancy: 10
; WaveLimiterHint : 0
; COMPUTE_PGM_RSRC2:SCRATCH_EN: 0
; COMPUTE_PGM_RSRC2:USER_SGPR: 6
; COMPUTE_PGM_RSRC2:TRAP_HANDLER: 0
; COMPUTE_PGM_RSRC2:TGID_X_EN: 1
; COMPUTE_PGM_RSRC2:TGID_Y_EN: 1
; COMPUTE_PGM_RSRC2:TGID_Z_EN: 1
; COMPUTE_PGM_RSRC2:TIDIG_COMP_CNT: 0
	.section	.text._ZL16dequantize_blockILi128ELi1EXadL_ZL15dequantize_q1_0PKvliR15HIP_vector_typeIfLj2EEEE14__hip_bfloat16EvS1_PT2_lllS2_IjLj3EElll,"axG",@progbits,_ZL16dequantize_blockILi128ELi1EXadL_ZL15dequantize_q1_0PKvliR15HIP_vector_typeIfLj2EEEE14__hip_bfloat16EvS1_PT2_lllS2_IjLj3EElll,comdat
	.globl	_ZL16dequantize_blockILi128ELi1EXadL_ZL15dequantize_q1_0PKvliR15HIP_vector_typeIfLj2EEEE14__hip_bfloat16EvS1_PT2_lllS2_IjLj3EElll ; -- Begin function _ZL16dequantize_blockILi128ELi1EXadL_ZL15dequantize_q1_0PKvliR15HIP_vector_typeIfLj2EEEE14__hip_bfloat16EvS1_PT2_lllS2_IjLj3EElll
	.p2align	8
	.type	_ZL16dequantize_blockILi128ELi1EXadL_ZL15dequantize_q1_0PKvliR15HIP_vector_typeIfLj2EEEE14__hip_bfloat16EvS1_PT2_lllS2_IjLj3EElll,@function
_ZL16dequantize_blockILi128ELi1EXadL_ZL15dequantize_q1_0PKvliR15HIP_vector_typeIfLj2EEEE14__hip_bfloat16EvS1_PT2_lllS2_IjLj3EElll: ; @_ZL16dequantize_blockILi128ELi1EXadL_ZL15dequantize_q1_0PKvliR15HIP_vector_typeIfLj2EEEE14__hip_bfloat16EvS1_PT2_lllS2_IjLj3EElll
; %bb.0:
	s_mov_b32 s10, s7
	s_load_dword s7, s[4:5], 0x5c
	s_add_u32 s24, s4, 0x50
	s_addc_u32 s25, s5, 0
	v_mov_b32_e32 v1, 0
	v_mov_b32_e32 v2, s6
	s_waitcnt lgkmcnt(0)
	s_and_b32 s0, s7, 0xffff
	v_mad_u64_u32 v[1:2], s[0:1], s0, v2, v[0:1]
	s_load_dwordx4 s[0:3], s[4:5], 0x10
	v_lshlrev_b64 v[3:4], 1, v[1:2]
	s_waitcnt lgkmcnt(0)
	v_cmp_gt_i64_e32 vcc, s[0:1], v[3:4]
	s_and_saveexec_b64 s[12:13], vcc
	s_cbranch_execz .LBB47_7
; %bb.1:
	s_load_dwordx2 s[26:27], s[4:5], 0x20
	s_mov_b32 s11, 0
	v_mov_b32_e32 v4, s10
	v_mov_b32_e32 v5, s11
	v_cmp_le_i64_e32 vcc, s[2:3], v[4:5]
	s_cbranch_vccnz .LBB47_7
; %bb.2:
	s_load_dwordx4 s[20:23], s[4:5], 0x0
	s_load_dwordx8 s[12:19], s[4:5], 0x28
	s_load_dwordx2 s[28:29], s[4:5], 0x48
	s_mul_i32 s4, s3, s8
	s_mul_hi_u32 s5, s2, s8
	s_add_i32 s5, s5, s4
	s_mul_i32 s4, s2, s8
	s_add_u32 s4, s4, s10
	s_addc_u32 s5, s5, 0
	v_lshrrev_b64 v[1:2], 6, v[1:2]
	s_mul_i32 s5, s0, s5
	s_waitcnt lgkmcnt(0)
	s_mul_hi_u32 s15, s0, s4
	s_add_i32 s5, s15, s5
	s_mul_i32 s15, s1, s4
	v_bfe_u32 v9, v3, 3, 4
	v_and_b32_e32 v10, 6, v3
	s_add_i32 s5, s5, s15
	s_mul_i32 s4, s0, s4
	v_lshlrev_b64 v[3:4], 8, v[1:2]
	s_mul_i32 s6, s6, s7
	s_lshl_b64 s[4:5], s[4:5], 1
	v_add_u16_e32 v0, s6, v0
	v_mov_b32_e32 v7, s5
	v_add_co_u32_e32 v3, vcc, s4, v3
	v_and_b32_e32 v0, 63, v0
	s_load_dword s30, s[24:25], 0x4
	v_addc_co_u32_e32 v4, vcc, v7, v4, vcc
	v_lshlrev_b32_e32 v0, 2, v0
	v_add_co_u32_e32 v0, vcc, v3, v0
	v_addc_co_u32_e32 v3, vcc, 0, v4, vcc
	v_mov_b32_e32 v4, s23
	v_add_co_u32_e32 v0, vcc, s22, v0
	v_addc_co_u32_e32 v4, vcc, v4, v3, vcc
	s_mov_b32 s9, s11
	v_mov_b32_e32 v5, s8
	v_add_co_u32_e32 v3, vcc, 2, v0
	s_waitcnt lgkmcnt(0)
	s_mul_i32 s4, s1, s30
	s_mul_hi_u32 s5, s0, s30
	v_mov_b32_e32 v6, s9
	v_addc_co_u32_e32 v4, vcc, 0, v4, vcc
	s_add_i32 s5, s5, s4
	s_mul_i32 s4, s0, s30
	s_lshl_b64 s[6:7], s[4:5], 1
	s_mul_i32 s1, s2, s1
	s_mul_hi_u32 s4, s2, s0
	v_cmp_gt_i64_e32 vcc, s[26:27], v[5:6]
	s_add_i32 s1, s4, s1
	s_mul_i32 s4, s3, s0
	s_add_i32 s1, s1, s4
	s_mul_i32 s0, s2, s0
	v_cndmask_b32_e64 v0, 0, 1, vcc
	v_mov_b32_e32 v6, s3
	v_or_b32_e32 v11, 1, v10
	s_lshl_b64 s[22:23], s[0:1], 1
	s_sub_i32 s31, 0, s14
	v_cmp_ne_u32_e64 s[0:1], 1, v0
	s_movk_i32 s33, 0x7fff
	s_mov_b32 s34, 0x7060302
	v_mov_b32_e32 v0, s7
	v_mov_b32_e32 v5, s2
	s_branch .LBB47_4
.LBB47_3:                               ;   in Loop: Header=BB47_4 Depth=1
	s_add_u32 s10, s10, s30
	s_addc_u32 s11, s11, 0
	v_cmp_ge_i64_e32 vcc, s[10:11], v[5:6]
	v_add_co_u32_e64 v3, s[2:3], s6, v3
	v_addc_co_u32_e64 v4, s[2:3], v4, v0, s[2:3]
	s_cbranch_vccnz .LBB47_7
.LBB47_4:                               ; =>This Loop Header: Depth=1
                                        ;     Child Loop BB47_6 Depth 2
	s_and_b64 vcc, exec, s[0:1]
	s_cbranch_vccnz .LBB47_3
; %bb.5:                                ;   in Loop: Header=BB47_4 Depth=1
	s_load_dword s7, s[24:25], 0x8
	s_mul_i32 s2, s10, s17
	s_mul_hi_u32 s3, s10, s16
	s_add_i32 s2, s3, s2
	s_mul_i32 s3, s11, s16
	s_add_i32 s2, s2, s3
	s_mul_i32 s3, s10, s16
	s_waitcnt lgkmcnt(0)
	s_mul_i32 s4, s23, s7
	s_mul_hi_u32 s5, s22, s7
	s_mul_i32 s2, s2, 18
	s_mul_hi_u32 s37, s3, 18
	v_mov_b32_e32 v8, v4
	s_add_i32 s35, s5, s4
	s_mul_i32 s36, s22, s7
	s_add_i32 s37, s37, s2
	s_mul_i32 s38, s3, 18
	v_mov_b32_e32 v7, v3
	s_mov_b64 s[14:15], s[8:9]
.LBB47_6:                               ;   Parent Loop BB47_4 Depth=1
                                        ; =>  This Inner Loop Header: Depth=2
	s_mul_hi_u32 s2, s12, s14
	s_add_i32 s2, s14, s2
	s_lshr_b32 s2, s2, s13
	s_mul_i32 s3, s31, s2
	s_mul_i32 s4, s29, s2
	s_mul_hi_u32 s5, s28, s2
	s_mul_i32 s2, s28, s2
	s_add_i32 s3, s14, s3
	s_add_i32 s4, s5, s4
	s_mul_hi_u32 s5, s2, 18
	s_mul_i32 s39, s19, s3
	s_mul_hi_u32 s40, s18, s3
	s_mul_i32 s4, s4, 18
	s_mul_i32 s2, s2, 18
	;; [unrolled: 1-line block ×3, first 2 shown]
	s_add_i32 s39, s40, s39
	s_add_i32 s5, s5, s4
	s_mul_hi_u32 s4, s3, 18
	s_add_u32 s2, s20, s2
	s_mul_i32 s39, s39, 18
	s_mul_i32 s3, s3, 18
	s_addc_u32 s5, s21, s5
	s_add_i32 s4, s4, s39
	s_add_u32 s2, s2, s3
	s_addc_u32 s3, s5, s4
	s_add_u32 s2, s2, s38
	s_addc_u32 s3, s3, s37
	v_mad_u64_u32 v[12:13], s[2:3], v1, 18, s[2:3]
	s_add_u32 s14, s14, s7
	s_addc_u32 s15, s15, 0
	v_mad_u64_u32 v[14:15], s[2:3], v2, 18, v[13:14]
	v_add_co_u32_e32 v15, vcc, v12, v9
	v_mov_b32_e32 v13, v14
	v_addc_co_u32_e32 v16, vcc, 0, v14, vcc
	global_load_ushort v14, v[12:13], off
	global_load_ubyte v17, v[15:16], off offset:2
	v_mov_b32_e32 v12, s26
	v_mov_b32_e32 v13, s27
	v_cmp_ge_i64_e32 vcc, s[14:15], v[12:13]
	v_mov_b32_e32 v15, s35
	s_and_b64 vcc, exec, vcc
	s_waitcnt vmcnt(1)
	v_cvt_f32_f16_e32 v12, v14
	s_waitcnt vmcnt(0)
	v_lshrrev_b32_e32 v13, v10, v17
	v_lshrrev_b32_e32 v14, v11, v17
	v_lshlrev_b32_e32 v13, 1, v13
	v_lshlrev_b32_e32 v14, 1, v14
	v_and_b32_e32 v13, 2, v13
	v_and_b32_e32 v14, 2, v14
	v_add_u32_e32 v13, -1, v13
	v_add_u32_e32 v14, -1, v14
	v_cvt_f32_i32_e32 v13, v13
	v_cvt_f32_i32_e32 v14, v14
	v_mul_f32_e32 v13, v12, v13
	v_mul_f32_e32 v12, v12, v14
	v_bfe_u32 v14, v13, 16, 1
	v_bfe_u32 v17, v12, 16, 1
	v_or_b32_e32 v16, 0x400000, v13
	v_or_b32_e32 v18, 0x400000, v12
	v_add3_u32 v14, v14, v13, s33
	v_add3_u32 v17, v17, v12, s33
	v_cmp_u_f32_e64 s[2:3], v12, v12
	v_cmp_u_f32_e64 s[4:5], v13, v13
	v_cndmask_b32_e64 v12, v14, v16, s[4:5]
	v_cndmask_b32_e64 v13, v17, v18, s[2:3]
	v_perm_b32 v12, v13, v12, s34
	global_store_dword v[7:8], v12, off offset:-2
	v_add_co_u32_e64 v7, s[2:3], s36, v7
	v_addc_co_u32_e64 v8, s[2:3], v8, v15, s[2:3]
	s_cbranch_vccz .LBB47_6
	s_branch .LBB47_3
.LBB47_7:
	s_endpgm
	.section	.rodata,"a",@progbits
	.p2align	6, 0x0
	.amdhsa_kernel _ZL16dequantize_blockILi128ELi1EXadL_ZL15dequantize_q1_0PKvliR15HIP_vector_typeIfLj2EEEE14__hip_bfloat16EvS1_PT2_lllS2_IjLj3EElll
		.amdhsa_group_segment_fixed_size 0
		.amdhsa_private_segment_fixed_size 0
		.amdhsa_kernarg_size 336
		.amdhsa_user_sgpr_count 6
		.amdhsa_user_sgpr_private_segment_buffer 1
		.amdhsa_user_sgpr_dispatch_ptr 0
		.amdhsa_user_sgpr_queue_ptr 0
		.amdhsa_user_sgpr_kernarg_segment_ptr 1
		.amdhsa_user_sgpr_dispatch_id 0
		.amdhsa_user_sgpr_flat_scratch_init 0
		.amdhsa_user_sgpr_private_segment_size 0
		.amdhsa_uses_dynamic_stack 0
		.amdhsa_system_sgpr_private_segment_wavefront_offset 0
		.amdhsa_system_sgpr_workgroup_id_x 1
		.amdhsa_system_sgpr_workgroup_id_y 1
		.amdhsa_system_sgpr_workgroup_id_z 1
		.amdhsa_system_sgpr_workgroup_info 0
		.amdhsa_system_vgpr_workitem_id 0
		.amdhsa_next_free_vgpr 19
		.amdhsa_next_free_sgpr 41
		.amdhsa_reserve_vcc 1
		.amdhsa_reserve_flat_scratch 0
		.amdhsa_float_round_mode_32 0
		.amdhsa_float_round_mode_16_64 0
		.amdhsa_float_denorm_mode_32 3
		.amdhsa_float_denorm_mode_16_64 3
		.amdhsa_dx10_clamp 1
		.amdhsa_ieee_mode 1
		.amdhsa_fp16_overflow 0
		.amdhsa_exception_fp_ieee_invalid_op 0
		.amdhsa_exception_fp_denorm_src 0
		.amdhsa_exception_fp_ieee_div_zero 0
		.amdhsa_exception_fp_ieee_overflow 0
		.amdhsa_exception_fp_ieee_underflow 0
		.amdhsa_exception_fp_ieee_inexact 0
		.amdhsa_exception_int_div_zero 0
	.end_amdhsa_kernel
	.section	.text._ZL16dequantize_blockILi128ELi1EXadL_ZL15dequantize_q1_0PKvliR15HIP_vector_typeIfLj2EEEE14__hip_bfloat16EvS1_PT2_lllS2_IjLj3EElll,"axG",@progbits,_ZL16dequantize_blockILi128ELi1EXadL_ZL15dequantize_q1_0PKvliR15HIP_vector_typeIfLj2EEEE14__hip_bfloat16EvS1_PT2_lllS2_IjLj3EElll,comdat
.Lfunc_end47:
	.size	_ZL16dequantize_blockILi128ELi1EXadL_ZL15dequantize_q1_0PKvliR15HIP_vector_typeIfLj2EEEE14__hip_bfloat16EvS1_PT2_lllS2_IjLj3EElll, .Lfunc_end47-_ZL16dequantize_blockILi128ELi1EXadL_ZL15dequantize_q1_0PKvliR15HIP_vector_typeIfLj2EEEE14__hip_bfloat16EvS1_PT2_lllS2_IjLj3EElll
                                        ; -- End function
	.set _ZL16dequantize_blockILi128ELi1EXadL_ZL15dequantize_q1_0PKvliR15HIP_vector_typeIfLj2EEEE14__hip_bfloat16EvS1_PT2_lllS2_IjLj3EElll.num_vgpr, 19
	.set _ZL16dequantize_blockILi128ELi1EXadL_ZL15dequantize_q1_0PKvliR15HIP_vector_typeIfLj2EEEE14__hip_bfloat16EvS1_PT2_lllS2_IjLj3EElll.num_agpr, 0
	.set _ZL16dequantize_blockILi128ELi1EXadL_ZL15dequantize_q1_0PKvliR15HIP_vector_typeIfLj2EEEE14__hip_bfloat16EvS1_PT2_lllS2_IjLj3EElll.numbered_sgpr, 41
	.set _ZL16dequantize_blockILi128ELi1EXadL_ZL15dequantize_q1_0PKvliR15HIP_vector_typeIfLj2EEEE14__hip_bfloat16EvS1_PT2_lllS2_IjLj3EElll.num_named_barrier, 0
	.set _ZL16dequantize_blockILi128ELi1EXadL_ZL15dequantize_q1_0PKvliR15HIP_vector_typeIfLj2EEEE14__hip_bfloat16EvS1_PT2_lllS2_IjLj3EElll.private_seg_size, 0
	.set _ZL16dequantize_blockILi128ELi1EXadL_ZL15dequantize_q1_0PKvliR15HIP_vector_typeIfLj2EEEE14__hip_bfloat16EvS1_PT2_lllS2_IjLj3EElll.uses_vcc, 1
	.set _ZL16dequantize_blockILi128ELi1EXadL_ZL15dequantize_q1_0PKvliR15HIP_vector_typeIfLj2EEEE14__hip_bfloat16EvS1_PT2_lllS2_IjLj3EElll.uses_flat_scratch, 0
	.set _ZL16dequantize_blockILi128ELi1EXadL_ZL15dequantize_q1_0PKvliR15HIP_vector_typeIfLj2EEEE14__hip_bfloat16EvS1_PT2_lllS2_IjLj3EElll.has_dyn_sized_stack, 0
	.set _ZL16dequantize_blockILi128ELi1EXadL_ZL15dequantize_q1_0PKvliR15HIP_vector_typeIfLj2EEEE14__hip_bfloat16EvS1_PT2_lllS2_IjLj3EElll.has_recursion, 0
	.set _ZL16dequantize_blockILi128ELi1EXadL_ZL15dequantize_q1_0PKvliR15HIP_vector_typeIfLj2EEEE14__hip_bfloat16EvS1_PT2_lllS2_IjLj3EElll.has_indirect_call, 0
	.section	.AMDGPU.csdata,"",@progbits
; Kernel info:
; codeLenInByte = 888
; TotalNumSgprs: 45
; NumVgprs: 19
; ScratchSize: 0
; MemoryBound: 0
; FloatMode: 240
; IeeeMode: 1
; LDSByteSize: 0 bytes/workgroup (compile time only)
; SGPRBlocks: 5
; VGPRBlocks: 4
; NumSGPRsForWavesPerEU: 45
; NumVGPRsForWavesPerEU: 19
; Occupancy: 10
; WaveLimiterHint : 0
; COMPUTE_PGM_RSRC2:SCRATCH_EN: 0
; COMPUTE_PGM_RSRC2:USER_SGPR: 6
; COMPUTE_PGM_RSRC2:TRAP_HANDLER: 0
; COMPUTE_PGM_RSRC2:TGID_X_EN: 1
; COMPUTE_PGM_RSRC2:TGID_Y_EN: 1
; COMPUTE_PGM_RSRC2:TGID_Z_EN: 1
; COMPUTE_PGM_RSRC2:TIDIG_COMP_CNT: 0
	.section	.text._ZL16dequantize_blockILi32ELi2EXadL_ZL15dequantize_q4_0PKvliR15HIP_vector_typeIfLj2EEEE14__hip_bfloat16EvS1_PT2_lllS2_IjLj3EElll,"axG",@progbits,_ZL16dequantize_blockILi32ELi2EXadL_ZL15dequantize_q4_0PKvliR15HIP_vector_typeIfLj2EEEE14__hip_bfloat16EvS1_PT2_lllS2_IjLj3EElll,comdat
	.globl	_ZL16dequantize_blockILi32ELi2EXadL_ZL15dequantize_q4_0PKvliR15HIP_vector_typeIfLj2EEEE14__hip_bfloat16EvS1_PT2_lllS2_IjLj3EElll ; -- Begin function _ZL16dequantize_blockILi32ELi2EXadL_ZL15dequantize_q4_0PKvliR15HIP_vector_typeIfLj2EEEE14__hip_bfloat16EvS1_PT2_lllS2_IjLj3EElll
	.p2align	8
	.type	_ZL16dequantize_blockILi32ELi2EXadL_ZL15dequantize_q4_0PKvliR15HIP_vector_typeIfLj2EEEE14__hip_bfloat16EvS1_PT2_lllS2_IjLj3EElll,@function
_ZL16dequantize_blockILi32ELi2EXadL_ZL15dequantize_q4_0PKvliR15HIP_vector_typeIfLj2EEEE14__hip_bfloat16EvS1_PT2_lllS2_IjLj3EElll: ; @_ZL16dequantize_blockILi32ELi2EXadL_ZL15dequantize_q4_0PKvliR15HIP_vector_typeIfLj2EEEE14__hip_bfloat16EvS1_PT2_lllS2_IjLj3EElll
; %bb.0:
	s_load_dword s0, s[4:5], 0x5c
	s_add_u32 s24, s4, 0x50
	s_addc_u32 s25, s5, 0
	v_mov_b32_e32 v1, 0
	v_mov_b32_e32 v2, s6
	s_waitcnt lgkmcnt(0)
	s_and_b32 s0, s0, 0xffff
	v_mad_u64_u32 v[2:3], s[0:1], s0, v2, v[0:1]
	s_load_dwordx4 s[0:3], s[4:5], 0x10
	s_mov_b32 s10, s7
	v_lshlrev_b64 v[0:1], 1, v[2:3]
	s_waitcnt lgkmcnt(0)
	v_cmp_gt_i64_e32 vcc, s[0:1], v[0:1]
	s_and_saveexec_b64 s[6:7], vcc
	s_cbranch_execz .LBB48_7
; %bb.1:
	s_load_dwordx2 s[6:7], s[4:5], 0x20
	s_mov_b32 s11, 0
	v_mov_b32_e32 v0, s10
	v_mov_b32_e32 v1, s11
	v_cmp_le_i64_e32 vcc, s[2:3], v[0:1]
	s_cbranch_vccnz .LBB48_7
; %bb.2:
	s_load_dwordx4 s[20:23], s[4:5], 0x0
	s_load_dwordx8 s[12:19], s[4:5], 0x28
	s_load_dwordx2 s[26:27], s[4:5], 0x48
	s_mul_i32 s4, s3, s8
	s_mul_hi_u32 s5, s2, s8
	s_add_i32 s5, s5, s4
	s_mul_i32 s4, s2, s8
	s_add_u32 s4, s4, s10
	s_addc_u32 s5, s5, 0
	v_lshrrev_b64 v[0:1], 4, v[2:3]
	s_mul_i32 s5, s0, s5
	s_waitcnt lgkmcnt(0)
	s_mul_hi_u32 s15, s0, s4
	s_add_i32 s5, s15, s5
	s_mul_i32 s15, s1, s4
	v_and_b32_e32 v8, 15, v2
	s_add_i32 s5, s5, s15
	s_mul_i32 s4, s0, s4
	v_lshlrev_b64 v[2:3], 6, v[0:1]
	s_lshl_b64 s[4:5], s[4:5], 1
	v_mov_b32_e32 v6, s5
	v_add_co_u32_e32 v2, vcc, s4, v2
	s_load_dword s30, s[24:25], 0x4
	v_addc_co_u32_e32 v3, vcc, v6, v3, vcc
	v_lshlrev_b32_e32 v6, 1, v8
	v_add_co_u32_e32 v2, vcc, v2, v6
	v_addc_co_u32_e32 v3, vcc, 0, v3, vcc
	v_mov_b32_e32 v6, s23
	v_add_co_u32_e32 v2, vcc, s22, v2
	v_addc_co_u32_e32 v3, vcc, v6, v3, vcc
	s_mov_b32 s9, s11
	v_mov_b32_e32 v4, s8
	v_add_co_u32_e32 v2, vcc, 32, v2
	s_waitcnt lgkmcnt(0)
	s_mul_i32 s4, s1, s30
	s_mul_hi_u32 s5, s0, s30
	v_mov_b32_e32 v5, s9
	v_addc_co_u32_e32 v3, vcc, 0, v3, vcc
	s_add_i32 s5, s5, s4
	s_mul_i32 s4, s0, s30
	s_lshl_b64 s[22:23], s[4:5], 1
	s_mul_i32 s1, s2, s1
	s_mul_hi_u32 s4, s2, s0
	v_cmp_gt_i64_e32 vcc, s[6:7], v[4:5]
	s_add_i32 s1, s4, s1
	s_mul_i32 s4, s3, s0
	s_add_i32 s1, s1, s4
	s_mul_i32 s0, s2, s0
	v_cndmask_b32_e64 v4, 0, 1, vcc
	s_lshl_b64 s[28:29], s[0:1], 1
	v_cmp_ne_u32_e64 s[0:1], 1, v4
	v_mov_b32_e32 v5, s3
	s_sub_i32 s31, 0, s14
	s_movk_i32 s33, 0x7fff
	v_mov_b32_e32 v9, s23
	v_mov_b32_e32 v4, s2
	s_branch .LBB48_4
.LBB48_3:                               ;   in Loop: Header=BB48_4 Depth=1
	s_add_u32 s10, s10, s30
	s_addc_u32 s11, s11, 0
	v_cmp_ge_i64_e32 vcc, s[10:11], v[4:5]
	v_add_co_u32_e64 v2, s[2:3], s22, v2
	v_addc_co_u32_e64 v3, s[2:3], v3, v9, s[2:3]
	s_cbranch_vccnz .LBB48_7
.LBB48_4:                               ; =>This Loop Header: Depth=1
                                        ;     Child Loop BB48_6 Depth 2
	s_and_b64 vcc, exec, s[0:1]
	s_cbranch_vccnz .LBB48_3
; %bb.5:                                ;   in Loop: Header=BB48_4 Depth=1
	s_load_dword s23, s[24:25], 0x8
	s_mul_i32 s2, s10, s17
	s_mul_hi_u32 s3, s10, s16
	s_add_i32 s2, s3, s2
	s_mul_i32 s3, s11, s16
	s_add_i32 s2, s2, s3
	s_mul_i32 s3, s10, s16
	s_waitcnt lgkmcnt(0)
	s_mul_i32 s4, s29, s23
	s_mul_hi_u32 s5, s28, s23
	s_mul_i32 s2, s2, 18
	s_mul_hi_u32 s36, s3, 18
	v_mov_b32_e32 v7, v3
	s_add_i32 s34, s5, s4
	s_mul_i32 s35, s28, s23
	s_add_i32 s36, s36, s2
	s_mul_i32 s37, s3, 18
	v_mov_b32_e32 v6, v2
	s_mov_b64 s[14:15], s[8:9]
.LBB48_6:                               ;   Parent Loop BB48_4 Depth=1
                                        ; =>  This Inner Loop Header: Depth=2
	s_mul_hi_u32 s2, s12, s14
	s_add_i32 s2, s14, s2
	s_lshr_b32 s2, s2, s13
	s_mul_i32 s3, s31, s2
	s_mul_i32 s4, s27, s2
	s_mul_hi_u32 s5, s26, s2
	s_mul_i32 s2, s26, s2
	s_add_i32 s3, s14, s3
	s_add_i32 s4, s5, s4
	s_mul_hi_u32 s5, s2, 18
	s_mul_i32 s38, s19, s3
	s_mul_hi_u32 s39, s18, s3
	s_mul_i32 s4, s4, 18
	s_mul_i32 s2, s2, 18
	;; [unrolled: 1-line block ×3, first 2 shown]
	s_add_i32 s38, s39, s38
	s_add_i32 s5, s5, s4
	s_mul_hi_u32 s4, s3, 18
	s_add_u32 s2, s20, s2
	s_mul_i32 s38, s38, 18
	s_mul_i32 s3, s3, 18
	s_addc_u32 s5, s21, s5
	s_add_i32 s4, s4, s38
	s_add_u32 s2, s2, s3
	s_addc_u32 s3, s5, s4
	s_add_u32 s2, s2, s37
	s_addc_u32 s3, s3, s36
	v_mad_u64_u32 v[10:11], s[2:3], v0, 18, s[2:3]
	s_add_u32 s14, s14, s23
	s_addc_u32 s15, s15, 0
	v_mad_u64_u32 v[12:13], s[2:3], v1, 18, v[11:12]
	v_add_co_u32_e32 v13, vcc, v10, v8
	v_mov_b32_e32 v11, v12
	v_addc_co_u32_e32 v14, vcc, 0, v12, vcc
	global_load_ushort v12, v[10:11], off
	global_load_ubyte v15, v[13:14], off offset:2
	v_mov_b32_e32 v11, s7
	v_mov_b32_e32 v10, s6
	v_cmp_ge_i64_e32 vcc, s[14:15], v[10:11]
	v_mov_b32_e32 v13, s34
	s_and_b64 vcc, exec, vcc
	s_waitcnt vmcnt(1)
	v_cvt_f32_f16_e32 v10, v12
	s_waitcnt vmcnt(0)
	v_and_b32_e32 v11, 15, v15
	v_lshrrev_b32_e32 v12, 4, v15
	v_add_u32_e32 v11, -8, v11
	v_add_u32_e32 v12, -8, v12
	v_cvt_f32_i32_e32 v11, v11
	v_cvt_f32_i32_e32 v12, v12
	v_mul_f32_e32 v11, v10, v11
	v_mul_f32_e32 v10, v10, v12
	v_bfe_u32 v12, v11, 16, 1
	v_or_b32_e32 v14, 0x400000, v11
	v_bfe_u32 v15, v10, 16, 1
	v_add3_u32 v12, v12, v11, s33
	v_cmp_u_f32_e64 s[4:5], v11, v11
	v_or_b32_e32 v16, 0x400000, v10
	v_add3_u32 v15, v15, v10, s33
	v_cmp_u_f32_e64 s[2:3], v10, v10
	v_cndmask_b32_e64 v10, v12, v14, s[4:5]
	v_cndmask_b32_e64 v11, v15, v16, s[2:3]
	global_store_short_d16_hi v[6:7], v10, off offset:-32
	global_store_short_d16_hi v[6:7], v11, off
	v_add_co_u32_e64 v6, s[2:3], s35, v6
	v_addc_co_u32_e64 v7, s[2:3], v7, v13, s[2:3]
	s_cbranch_vccz .LBB48_6
	s_branch .LBB48_3
.LBB48_7:
	s_endpgm
	.section	.rodata,"a",@progbits
	.p2align	6, 0x0
	.amdhsa_kernel _ZL16dequantize_blockILi32ELi2EXadL_ZL15dequantize_q4_0PKvliR15HIP_vector_typeIfLj2EEEE14__hip_bfloat16EvS1_PT2_lllS2_IjLj3EElll
		.amdhsa_group_segment_fixed_size 0
		.amdhsa_private_segment_fixed_size 0
		.amdhsa_kernarg_size 336
		.amdhsa_user_sgpr_count 6
		.amdhsa_user_sgpr_private_segment_buffer 1
		.amdhsa_user_sgpr_dispatch_ptr 0
		.amdhsa_user_sgpr_queue_ptr 0
		.amdhsa_user_sgpr_kernarg_segment_ptr 1
		.amdhsa_user_sgpr_dispatch_id 0
		.amdhsa_user_sgpr_flat_scratch_init 0
		.amdhsa_user_sgpr_private_segment_size 0
		.amdhsa_uses_dynamic_stack 0
		.amdhsa_system_sgpr_private_segment_wavefront_offset 0
		.amdhsa_system_sgpr_workgroup_id_x 1
		.amdhsa_system_sgpr_workgroup_id_y 1
		.amdhsa_system_sgpr_workgroup_id_z 1
		.amdhsa_system_sgpr_workgroup_info 0
		.amdhsa_system_vgpr_workitem_id 0
		.amdhsa_next_free_vgpr 17
		.amdhsa_next_free_sgpr 40
		.amdhsa_reserve_vcc 1
		.amdhsa_reserve_flat_scratch 0
		.amdhsa_float_round_mode_32 0
		.amdhsa_float_round_mode_16_64 0
		.amdhsa_float_denorm_mode_32 3
		.amdhsa_float_denorm_mode_16_64 3
		.amdhsa_dx10_clamp 1
		.amdhsa_ieee_mode 1
		.amdhsa_fp16_overflow 0
		.amdhsa_exception_fp_ieee_invalid_op 0
		.amdhsa_exception_fp_denorm_src 0
		.amdhsa_exception_fp_ieee_div_zero 0
		.amdhsa_exception_fp_ieee_overflow 0
		.amdhsa_exception_fp_ieee_underflow 0
		.amdhsa_exception_fp_ieee_inexact 0
		.amdhsa_exception_int_div_zero 0
	.end_amdhsa_kernel
	.section	.text._ZL16dequantize_blockILi32ELi2EXadL_ZL15dequantize_q4_0PKvliR15HIP_vector_typeIfLj2EEEE14__hip_bfloat16EvS1_PT2_lllS2_IjLj3EElll,"axG",@progbits,_ZL16dequantize_blockILi32ELi2EXadL_ZL15dequantize_q4_0PKvliR15HIP_vector_typeIfLj2EEEE14__hip_bfloat16EvS1_PT2_lllS2_IjLj3EElll,comdat
.Lfunc_end48:
	.size	_ZL16dequantize_blockILi32ELi2EXadL_ZL15dequantize_q4_0PKvliR15HIP_vector_typeIfLj2EEEE14__hip_bfloat16EvS1_PT2_lllS2_IjLj3EElll, .Lfunc_end48-_ZL16dequantize_blockILi32ELi2EXadL_ZL15dequantize_q4_0PKvliR15HIP_vector_typeIfLj2EEEE14__hip_bfloat16EvS1_PT2_lllS2_IjLj3EElll
                                        ; -- End function
	.set _ZL16dequantize_blockILi32ELi2EXadL_ZL15dequantize_q4_0PKvliR15HIP_vector_typeIfLj2EEEE14__hip_bfloat16EvS1_PT2_lllS2_IjLj3EElll.num_vgpr, 17
	.set _ZL16dequantize_blockILi32ELi2EXadL_ZL15dequantize_q4_0PKvliR15HIP_vector_typeIfLj2EEEE14__hip_bfloat16EvS1_PT2_lllS2_IjLj3EElll.num_agpr, 0
	.set _ZL16dequantize_blockILi32ELi2EXadL_ZL15dequantize_q4_0PKvliR15HIP_vector_typeIfLj2EEEE14__hip_bfloat16EvS1_PT2_lllS2_IjLj3EElll.numbered_sgpr, 40
	.set _ZL16dequantize_blockILi32ELi2EXadL_ZL15dequantize_q4_0PKvliR15HIP_vector_typeIfLj2EEEE14__hip_bfloat16EvS1_PT2_lllS2_IjLj3EElll.num_named_barrier, 0
	.set _ZL16dequantize_blockILi32ELi2EXadL_ZL15dequantize_q4_0PKvliR15HIP_vector_typeIfLj2EEEE14__hip_bfloat16EvS1_PT2_lllS2_IjLj3EElll.private_seg_size, 0
	.set _ZL16dequantize_blockILi32ELi2EXadL_ZL15dequantize_q4_0PKvliR15HIP_vector_typeIfLj2EEEE14__hip_bfloat16EvS1_PT2_lllS2_IjLj3EElll.uses_vcc, 1
	.set _ZL16dequantize_blockILi32ELi2EXadL_ZL15dequantize_q4_0PKvliR15HIP_vector_typeIfLj2EEEE14__hip_bfloat16EvS1_PT2_lllS2_IjLj3EElll.uses_flat_scratch, 0
	.set _ZL16dequantize_blockILi32ELi2EXadL_ZL15dequantize_q4_0PKvliR15HIP_vector_typeIfLj2EEEE14__hip_bfloat16EvS1_PT2_lllS2_IjLj3EElll.has_dyn_sized_stack, 0
	.set _ZL16dequantize_blockILi32ELi2EXadL_ZL15dequantize_q4_0PKvliR15HIP_vector_typeIfLj2EEEE14__hip_bfloat16EvS1_PT2_lllS2_IjLj3EElll.has_recursion, 0
	.set _ZL16dequantize_blockILi32ELi2EXadL_ZL15dequantize_q4_0PKvliR15HIP_vector_typeIfLj2EEEE14__hip_bfloat16EvS1_PT2_lllS2_IjLj3EElll.has_indirect_call, 0
	.section	.AMDGPU.csdata,"",@progbits
; Kernel info:
; codeLenInByte = 840
; TotalNumSgprs: 44
; NumVgprs: 17
; ScratchSize: 0
; MemoryBound: 0
; FloatMode: 240
; IeeeMode: 1
; LDSByteSize: 0 bytes/workgroup (compile time only)
; SGPRBlocks: 5
; VGPRBlocks: 4
; NumSGPRsForWavesPerEU: 44
; NumVGPRsForWavesPerEU: 17
; Occupancy: 10
; WaveLimiterHint : 0
; COMPUTE_PGM_RSRC2:SCRATCH_EN: 0
; COMPUTE_PGM_RSRC2:USER_SGPR: 6
; COMPUTE_PGM_RSRC2:TRAP_HANDLER: 0
; COMPUTE_PGM_RSRC2:TGID_X_EN: 1
; COMPUTE_PGM_RSRC2:TGID_Y_EN: 1
; COMPUTE_PGM_RSRC2:TGID_Z_EN: 1
; COMPUTE_PGM_RSRC2:TIDIG_COMP_CNT: 0
	.section	.text._ZL16dequantize_blockILi32ELi2EXadL_ZL15dequantize_q4_1PKvliR15HIP_vector_typeIfLj2EEEE14__hip_bfloat16EvS1_PT2_lllS2_IjLj3EElll,"axG",@progbits,_ZL16dequantize_blockILi32ELi2EXadL_ZL15dequantize_q4_1PKvliR15HIP_vector_typeIfLj2EEEE14__hip_bfloat16EvS1_PT2_lllS2_IjLj3EElll,comdat
	.globl	_ZL16dequantize_blockILi32ELi2EXadL_ZL15dequantize_q4_1PKvliR15HIP_vector_typeIfLj2EEEE14__hip_bfloat16EvS1_PT2_lllS2_IjLj3EElll ; -- Begin function _ZL16dequantize_blockILi32ELi2EXadL_ZL15dequantize_q4_1PKvliR15HIP_vector_typeIfLj2EEEE14__hip_bfloat16EvS1_PT2_lllS2_IjLj3EElll
	.p2align	8
	.type	_ZL16dequantize_blockILi32ELi2EXadL_ZL15dequantize_q4_1PKvliR15HIP_vector_typeIfLj2EEEE14__hip_bfloat16EvS1_PT2_lllS2_IjLj3EElll,@function
_ZL16dequantize_blockILi32ELi2EXadL_ZL15dequantize_q4_1PKvliR15HIP_vector_typeIfLj2EEEE14__hip_bfloat16EvS1_PT2_lllS2_IjLj3EElll: ; @_ZL16dequantize_blockILi32ELi2EXadL_ZL15dequantize_q4_1PKvliR15HIP_vector_typeIfLj2EEEE14__hip_bfloat16EvS1_PT2_lllS2_IjLj3EElll
; %bb.0:
	s_load_dword s0, s[4:5], 0x5c
	s_add_u32 s24, s4, 0x50
	s_addc_u32 s25, s5, 0
	v_mov_b32_e32 v1, 0
	v_mov_b32_e32 v2, s6
	s_waitcnt lgkmcnt(0)
	s_and_b32 s0, s0, 0xffff
	v_mad_u64_u32 v[2:3], s[0:1], s0, v2, v[0:1]
	s_load_dwordx4 s[0:3], s[4:5], 0x10
	s_mov_b32 s10, s7
	v_lshlrev_b64 v[0:1], 1, v[2:3]
	s_waitcnt lgkmcnt(0)
	v_cmp_gt_i64_e32 vcc, s[0:1], v[0:1]
	s_and_saveexec_b64 s[6:7], vcc
	s_cbranch_execz .LBB49_7
; %bb.1:
	s_load_dwordx2 s[6:7], s[4:5], 0x20
	s_mov_b32 s11, 0
	v_mov_b32_e32 v0, s10
	v_mov_b32_e32 v1, s11
	v_cmp_le_i64_e32 vcc, s[2:3], v[0:1]
	s_cbranch_vccnz .LBB49_7
; %bb.2:
	s_load_dwordx4 s[20:23], s[4:5], 0x0
	s_load_dwordx8 s[12:19], s[4:5], 0x28
	s_load_dwordx2 s[26:27], s[4:5], 0x48
	s_mul_i32 s4, s3, s8
	s_mul_hi_u32 s5, s2, s8
	s_add_i32 s5, s5, s4
	s_mul_i32 s4, s2, s8
	s_add_u32 s4, s4, s10
	s_addc_u32 s5, s5, 0
	v_lshrrev_b64 v[0:1], 4, v[2:3]
	s_mul_i32 s5, s0, s5
	s_waitcnt lgkmcnt(0)
	s_mul_hi_u32 s15, s0, s4
	s_add_i32 s5, s15, s5
	s_mul_i32 s15, s1, s4
	v_and_b32_e32 v8, 15, v2
	s_add_i32 s5, s5, s15
	s_mul_i32 s4, s0, s4
	v_lshlrev_b64 v[2:3], 6, v[0:1]
	s_lshl_b64 s[4:5], s[4:5], 1
	v_mov_b32_e32 v6, s5
	v_add_co_u32_e32 v2, vcc, s4, v2
	s_load_dword s30, s[24:25], 0x4
	v_addc_co_u32_e32 v3, vcc, v6, v3, vcc
	v_lshlrev_b32_e32 v6, 1, v8
	v_add_co_u32_e32 v2, vcc, v2, v6
	v_addc_co_u32_e32 v3, vcc, 0, v3, vcc
	v_mov_b32_e32 v6, s23
	v_add_co_u32_e32 v2, vcc, s22, v2
	v_addc_co_u32_e32 v3, vcc, v6, v3, vcc
	s_mov_b32 s9, s11
	v_mov_b32_e32 v4, s8
	v_add_co_u32_e32 v2, vcc, 32, v2
	s_waitcnt lgkmcnt(0)
	s_mul_i32 s4, s1, s30
	s_mul_hi_u32 s5, s0, s30
	v_mov_b32_e32 v5, s9
	v_addc_co_u32_e32 v3, vcc, 0, v3, vcc
	s_add_i32 s5, s5, s4
	s_mul_i32 s4, s0, s30
	s_lshl_b64 s[22:23], s[4:5], 1
	s_mul_i32 s1, s2, s1
	s_mul_hi_u32 s4, s2, s0
	v_cmp_gt_i64_e32 vcc, s[6:7], v[4:5]
	s_add_i32 s1, s4, s1
	s_mul_i32 s4, s3, s0
	s_add_i32 s1, s1, s4
	s_mul_i32 s0, s2, s0
	v_cndmask_b32_e64 v4, 0, 1, vcc
	s_lshl_b64 s[28:29], s[0:1], 1
	v_cmp_ne_u32_e64 s[0:1], 1, v4
	v_mov_b32_e32 v5, s3
	s_sub_i32 s31, 0, s14
	s_movk_i32 s33, 0x7fff
	v_mov_b32_e32 v9, s23
	v_mov_b32_e32 v4, s2
	s_branch .LBB49_4
.LBB49_3:                               ;   in Loop: Header=BB49_4 Depth=1
	s_add_u32 s10, s10, s30
	s_addc_u32 s11, s11, 0
	v_cmp_ge_i64_e32 vcc, s[10:11], v[4:5]
	v_add_co_u32_e64 v2, s[2:3], s22, v2
	v_addc_co_u32_e64 v3, s[2:3], v3, v9, s[2:3]
	s_cbranch_vccnz .LBB49_7
.LBB49_4:                               ; =>This Loop Header: Depth=1
                                        ;     Child Loop BB49_6 Depth 2
	s_and_b64 vcc, exec, s[0:1]
	s_cbranch_vccnz .LBB49_3
; %bb.5:                                ;   in Loop: Header=BB49_4 Depth=1
	s_load_dword s23, s[24:25], 0x8
	s_mul_i32 s2, s10, s17
	s_mul_hi_u32 s3, s10, s16
	s_add_i32 s2, s3, s2
	s_mul_i32 s3, s11, s16
	s_add_i32 s2, s2, s3
	s_mul_i32 s3, s10, s16
	s_waitcnt lgkmcnt(0)
	s_mul_i32 s4, s29, s23
	s_mul_hi_u32 s5, s28, s23
	s_mul_i32 s2, s2, 20
	s_mul_hi_u32 s36, s3, 20
	v_mov_b32_e32 v7, v3
	s_add_i32 s34, s5, s4
	s_mul_i32 s35, s28, s23
	s_add_i32 s36, s36, s2
	s_mul_i32 s37, s3, 20
	v_mov_b32_e32 v6, v2
	s_mov_b64 s[14:15], s[8:9]
.LBB49_6:                               ;   Parent Loop BB49_4 Depth=1
                                        ; =>  This Inner Loop Header: Depth=2
	s_mul_hi_u32 s2, s12, s14
	s_add_i32 s2, s14, s2
	s_lshr_b32 s2, s2, s13
	s_mul_i32 s3, s31, s2
	s_mul_i32 s4, s27, s2
	s_mul_hi_u32 s5, s26, s2
	s_mul_i32 s2, s26, s2
	s_add_i32 s3, s14, s3
	s_add_i32 s4, s5, s4
	s_mul_hi_u32 s5, s2, 20
	s_mul_i32 s38, s19, s3
	s_mul_hi_u32 s39, s18, s3
	s_mul_i32 s4, s4, 20
	s_mul_i32 s2, s2, 20
	;; [unrolled: 1-line block ×3, first 2 shown]
	s_add_i32 s38, s39, s38
	s_add_i32 s5, s5, s4
	s_mul_hi_u32 s4, s3, 20
	s_add_u32 s2, s20, s2
	s_mul_i32 s38, s38, 20
	s_mul_i32 s3, s3, 20
	s_addc_u32 s5, s21, s5
	s_add_i32 s4, s4, s38
	s_add_u32 s2, s2, s3
	s_addc_u32 s3, s5, s4
	s_add_u32 s2, s2, s37
	s_addc_u32 s3, s3, s36
	v_mad_u64_u32 v[10:11], s[2:3], v0, 20, s[2:3]
	s_add_u32 s14, s14, s23
	s_addc_u32 s15, s15, 0
	v_mad_u64_u32 v[12:13], s[2:3], v1, 20, v[11:12]
	v_add_co_u32_e32 v13, vcc, v10, v8
	v_addc_co_u32_e32 v14, vcc, 0, v12, vcc
	v_mov_b32_e32 v11, v12
	global_load_ubyte v12, v[13:14], off offset:4
	global_load_dword v15, v[10:11], off
	v_mov_b32_e32 v11, s7
	v_mov_b32_e32 v10, s6
	v_cmp_ge_i64_e32 vcc, s[14:15], v[10:11]
	v_mov_b32_e32 v13, s34
	s_and_b64 vcc, exec, vcc
	s_waitcnt vmcnt(1)
	v_and_b32_e32 v10, 15, v12
	v_lshrrev_b32_e32 v11, 4, v12
	v_cvt_f32_ubyte0_e32 v10, v10
	v_cvt_f32_ubyte0_e32 v11, v11
	s_waitcnt vmcnt(0)
	v_fma_mix_f32 v10, v15, v10, v15 op_sel:[0,0,1] op_sel_hi:[1,0,1]
	v_fma_mix_f32 v11, v15, v11, v15 op_sel:[0,0,1] op_sel_hi:[1,0,1]
	v_bfe_u32 v12, v10, 16, 1
	v_or_b32_e32 v14, 0x400000, v10
	v_bfe_u32 v15, v11, 16, 1
	v_add3_u32 v12, v12, v10, s33
	v_cmp_u_f32_e64 s[4:5], v10, v10
	v_or_b32_e32 v16, 0x400000, v11
	v_add3_u32 v15, v15, v11, s33
	v_cmp_u_f32_e64 s[2:3], v11, v11
	v_cndmask_b32_e64 v10, v12, v14, s[4:5]
	v_cndmask_b32_e64 v11, v15, v16, s[2:3]
	global_store_short_d16_hi v[6:7], v10, off offset:-32
	global_store_short_d16_hi v[6:7], v11, off
	v_add_co_u32_e64 v6, s[2:3], s35, v6
	v_addc_co_u32_e64 v7, s[2:3], v7, v13, s[2:3]
	s_cbranch_vccz .LBB49_6
	s_branch .LBB49_3
.LBB49_7:
	s_endpgm
	.section	.rodata,"a",@progbits
	.p2align	6, 0x0
	.amdhsa_kernel _ZL16dequantize_blockILi32ELi2EXadL_ZL15dequantize_q4_1PKvliR15HIP_vector_typeIfLj2EEEE14__hip_bfloat16EvS1_PT2_lllS2_IjLj3EElll
		.amdhsa_group_segment_fixed_size 0
		.amdhsa_private_segment_fixed_size 0
		.amdhsa_kernarg_size 336
		.amdhsa_user_sgpr_count 6
		.amdhsa_user_sgpr_private_segment_buffer 1
		.amdhsa_user_sgpr_dispatch_ptr 0
		.amdhsa_user_sgpr_queue_ptr 0
		.amdhsa_user_sgpr_kernarg_segment_ptr 1
		.amdhsa_user_sgpr_dispatch_id 0
		.amdhsa_user_sgpr_flat_scratch_init 0
		.amdhsa_user_sgpr_private_segment_size 0
		.amdhsa_uses_dynamic_stack 0
		.amdhsa_system_sgpr_private_segment_wavefront_offset 0
		.amdhsa_system_sgpr_workgroup_id_x 1
		.amdhsa_system_sgpr_workgroup_id_y 1
		.amdhsa_system_sgpr_workgroup_id_z 1
		.amdhsa_system_sgpr_workgroup_info 0
		.amdhsa_system_vgpr_workitem_id 0
		.amdhsa_next_free_vgpr 17
		.amdhsa_next_free_sgpr 40
		.amdhsa_reserve_vcc 1
		.amdhsa_reserve_flat_scratch 0
		.amdhsa_float_round_mode_32 0
		.amdhsa_float_round_mode_16_64 0
		.amdhsa_float_denorm_mode_32 3
		.amdhsa_float_denorm_mode_16_64 3
		.amdhsa_dx10_clamp 1
		.amdhsa_ieee_mode 1
		.amdhsa_fp16_overflow 0
		.amdhsa_exception_fp_ieee_invalid_op 0
		.amdhsa_exception_fp_denorm_src 0
		.amdhsa_exception_fp_ieee_div_zero 0
		.amdhsa_exception_fp_ieee_overflow 0
		.amdhsa_exception_fp_ieee_underflow 0
		.amdhsa_exception_fp_ieee_inexact 0
		.amdhsa_exception_int_div_zero 0
	.end_amdhsa_kernel
	.section	.text._ZL16dequantize_blockILi32ELi2EXadL_ZL15dequantize_q4_1PKvliR15HIP_vector_typeIfLj2EEEE14__hip_bfloat16EvS1_PT2_lllS2_IjLj3EElll,"axG",@progbits,_ZL16dequantize_blockILi32ELi2EXadL_ZL15dequantize_q4_1PKvliR15HIP_vector_typeIfLj2EEEE14__hip_bfloat16EvS1_PT2_lllS2_IjLj3EElll,comdat
.Lfunc_end49:
	.size	_ZL16dequantize_blockILi32ELi2EXadL_ZL15dequantize_q4_1PKvliR15HIP_vector_typeIfLj2EEEE14__hip_bfloat16EvS1_PT2_lllS2_IjLj3EElll, .Lfunc_end49-_ZL16dequantize_blockILi32ELi2EXadL_ZL15dequantize_q4_1PKvliR15HIP_vector_typeIfLj2EEEE14__hip_bfloat16EvS1_PT2_lllS2_IjLj3EElll
                                        ; -- End function
	.set _ZL16dequantize_blockILi32ELi2EXadL_ZL15dequantize_q4_1PKvliR15HIP_vector_typeIfLj2EEEE14__hip_bfloat16EvS1_PT2_lllS2_IjLj3EElll.num_vgpr, 17
	.set _ZL16dequantize_blockILi32ELi2EXadL_ZL15dequantize_q4_1PKvliR15HIP_vector_typeIfLj2EEEE14__hip_bfloat16EvS1_PT2_lllS2_IjLj3EElll.num_agpr, 0
	.set _ZL16dequantize_blockILi32ELi2EXadL_ZL15dequantize_q4_1PKvliR15HIP_vector_typeIfLj2EEEE14__hip_bfloat16EvS1_PT2_lllS2_IjLj3EElll.numbered_sgpr, 40
	.set _ZL16dequantize_blockILi32ELi2EXadL_ZL15dequantize_q4_1PKvliR15HIP_vector_typeIfLj2EEEE14__hip_bfloat16EvS1_PT2_lllS2_IjLj3EElll.num_named_barrier, 0
	.set _ZL16dequantize_blockILi32ELi2EXadL_ZL15dequantize_q4_1PKvliR15HIP_vector_typeIfLj2EEEE14__hip_bfloat16EvS1_PT2_lllS2_IjLj3EElll.private_seg_size, 0
	.set _ZL16dequantize_blockILi32ELi2EXadL_ZL15dequantize_q4_1PKvliR15HIP_vector_typeIfLj2EEEE14__hip_bfloat16EvS1_PT2_lllS2_IjLj3EElll.uses_vcc, 1
	.set _ZL16dequantize_blockILi32ELi2EXadL_ZL15dequantize_q4_1PKvliR15HIP_vector_typeIfLj2EEEE14__hip_bfloat16EvS1_PT2_lllS2_IjLj3EElll.uses_flat_scratch, 0
	.set _ZL16dequantize_blockILi32ELi2EXadL_ZL15dequantize_q4_1PKvliR15HIP_vector_typeIfLj2EEEE14__hip_bfloat16EvS1_PT2_lllS2_IjLj3EElll.has_dyn_sized_stack, 0
	.set _ZL16dequantize_blockILi32ELi2EXadL_ZL15dequantize_q4_1PKvliR15HIP_vector_typeIfLj2EEEE14__hip_bfloat16EvS1_PT2_lllS2_IjLj3EElll.has_recursion, 0
	.set _ZL16dequantize_blockILi32ELi2EXadL_ZL15dequantize_q4_1PKvliR15HIP_vector_typeIfLj2EEEE14__hip_bfloat16EvS1_PT2_lllS2_IjLj3EElll.has_indirect_call, 0
	.section	.AMDGPU.csdata,"",@progbits
; Kernel info:
; codeLenInByte = 836
; TotalNumSgprs: 44
; NumVgprs: 17
; ScratchSize: 0
; MemoryBound: 0
; FloatMode: 240
; IeeeMode: 1
; LDSByteSize: 0 bytes/workgroup (compile time only)
; SGPRBlocks: 5
; VGPRBlocks: 4
; NumSGPRsForWavesPerEU: 44
; NumVGPRsForWavesPerEU: 17
; Occupancy: 10
; WaveLimiterHint : 0
; COMPUTE_PGM_RSRC2:SCRATCH_EN: 0
; COMPUTE_PGM_RSRC2:USER_SGPR: 6
; COMPUTE_PGM_RSRC2:TRAP_HANDLER: 0
; COMPUTE_PGM_RSRC2:TGID_X_EN: 1
; COMPUTE_PGM_RSRC2:TGID_Y_EN: 1
; COMPUTE_PGM_RSRC2:TGID_Z_EN: 1
; COMPUTE_PGM_RSRC2:TIDIG_COMP_CNT: 0
	.section	.text._ZL16dequantize_blockILi32ELi2EXadL_ZL15dequantize_q5_0PKvliR15HIP_vector_typeIfLj2EEEE14__hip_bfloat16EvS1_PT2_lllS2_IjLj3EElll,"axG",@progbits,_ZL16dequantize_blockILi32ELi2EXadL_ZL15dequantize_q5_0PKvliR15HIP_vector_typeIfLj2EEEE14__hip_bfloat16EvS1_PT2_lllS2_IjLj3EElll,comdat
	.globl	_ZL16dequantize_blockILi32ELi2EXadL_ZL15dequantize_q5_0PKvliR15HIP_vector_typeIfLj2EEEE14__hip_bfloat16EvS1_PT2_lllS2_IjLj3EElll ; -- Begin function _ZL16dequantize_blockILi32ELi2EXadL_ZL15dequantize_q5_0PKvliR15HIP_vector_typeIfLj2EEEE14__hip_bfloat16EvS1_PT2_lllS2_IjLj3EElll
	.p2align	8
	.type	_ZL16dequantize_blockILi32ELi2EXadL_ZL15dequantize_q5_0PKvliR15HIP_vector_typeIfLj2EEEE14__hip_bfloat16EvS1_PT2_lllS2_IjLj3EElll,@function
_ZL16dequantize_blockILi32ELi2EXadL_ZL15dequantize_q5_0PKvliR15HIP_vector_typeIfLj2EEEE14__hip_bfloat16EvS1_PT2_lllS2_IjLj3EElll: ; @_ZL16dequantize_blockILi32ELi2EXadL_ZL15dequantize_q5_0PKvliR15HIP_vector_typeIfLj2EEEE14__hip_bfloat16EvS1_PT2_lllS2_IjLj3EElll
; %bb.0:
	s_load_dword s0, s[4:5], 0x5c
	s_load_dwordx4 s[20:23], s[4:5], 0x10
	s_add_u32 s28, s4, 0x50
	s_addc_u32 s29, s5, 0
	v_mov_b32_e32 v1, 0
	s_waitcnt lgkmcnt(0)
	s_and_b32 s0, s0, 0xffff
	v_mov_b32_e32 v2, s6
	v_mad_u64_u32 v[2:3], s[0:1], s0, v2, v[0:1]
	v_lshlrev_b64 v[0:1], 1, v[2:3]
	v_cmp_gt_i64_e32 vcc, s[20:21], v[0:1]
	s_and_saveexec_b64 s[0:1], vcc
	s_cbranch_execz .LBB50_7
; %bb.1:
	s_mov_b32 s10, s7
	s_load_dwordx2 s[6:7], s[4:5], 0x20
	s_mov_b32 s11, 0
	v_mov_b32_e32 v0, s10
	v_mov_b32_e32 v1, s11
	v_cmp_le_i64_e32 vcc, s[22:23], v[0:1]
	s_cbranch_vccnz .LBB50_7
; %bb.2:
	s_mul_i32 s0, s23, s8
	s_mul_hi_u32 s1, s22, s8
	s_add_i32 s1, s1, s0
	s_mul_i32 s0, s22, s8
	s_add_u32 s0, s0, s10
	s_addc_u32 s1, s1, 0
	v_lshrrev_b64 v[0:1], 4, v[2:3]
	s_mul_i32 s1, s20, s1
	s_mul_hi_u32 s2, s20, s0
	s_add_i32 s1, s2, s1
	s_mul_i32 s2, s21, s0
	v_and_b32_e32 v6, 15, v2
	s_add_i32 s1, s1, s2
	s_mul_i32 s0, s20, s0
	v_lshlrev_b64 v[2:3], 6, v[0:1]
	s_lshl_b64 s[0:1], s[0:1], 1
	v_mov_b32_e32 v8, s1
	v_add_co_u32_e32 v2, vcc, s0, v2
	s_load_dwordx4 s[24:27], s[4:5], 0x0
	s_load_dwordx8 s[12:19], s[4:5], 0x28
	s_load_dwordx2 s[30:31], s[4:5], 0x48
	s_load_dword s33, s[28:29], 0x4
	v_addc_co_u32_e32 v3, vcc, v8, v3, vcc
	v_lshlrev_b32_e32 v8, 1, v6
	v_add_co_u32_e32 v2, vcc, v2, v8
	v_addc_co_u32_e32 v3, vcc, 0, v3, vcc
	s_waitcnt lgkmcnt(0)
	v_mov_b32_e32 v8, s27
	v_add_co_u32_e32 v2, vcc, s26, v2
	v_addc_co_u32_e32 v3, vcc, v8, v3, vcc
	s_mov_b32 s9, s11
	v_mov_b32_e32 v4, s8
	v_add_co_u32_e32 v2, vcc, 32, v2
	s_mul_i32 s0, s21, s33
	s_mul_hi_u32 s1, s20, s33
	v_mov_b32_e32 v5, s9
	v_addc_co_u32_e32 v3, vcc, 0, v3, vcc
	s_add_i32 s1, s1, s0
	s_mul_i32 s0, s20, s33
	s_lshl_b64 s[4:5], s[0:1], 1
	s_mul_i32 s0, s22, s21
	s_mul_hi_u32 s1, s22, s20
	v_cmp_gt_i64_e32 vcc, s[6:7], v[4:5]
	s_add_i32 s0, s1, s0
	s_mul_i32 s1, s23, s20
	s_add_i32 s1, s0, s1
	s_mul_i32 s0, s22, s20
	v_cndmask_b32_e64 v4, 0, 1, vcc
	v_add_u32_e32 v7, 12, v6
	s_lshl_b64 s[20:21], s[0:1], 1
	s_sub_i32 s26, 0, s14
	v_cmp_ne_u32_e64 s[0:1], 1, v4
	s_mov_b32 s27, 0x1000706
	s_movk_i32 s34, 0x7fff
	v_mov_b32_e32 v8, s5
	s_branch .LBB50_4
.LBB50_3:                               ;   in Loop: Header=BB50_4 Depth=1
	s_add_u32 s10, s10, s33
	v_mov_b32_e32 v4, s22
	s_addc_u32 s11, s11, 0
	v_mov_b32_e32 v5, s23
	v_cmp_ge_i64_e32 vcc, s[10:11], v[4:5]
	v_add_co_u32_e64 v2, s[2:3], s4, v2
	v_addc_co_u32_e64 v3, s[2:3], v3, v8, s[2:3]
	s_cbranch_vccnz .LBB50_7
.LBB50_4:                               ; =>This Loop Header: Depth=1
                                        ;     Child Loop BB50_6 Depth 2
	s_and_b64 vcc, exec, s[0:1]
	s_cbranch_vccnz .LBB50_3
; %bb.5:                                ;   in Loop: Header=BB50_4 Depth=1
	s_load_dword s5, s[28:29], 0x8
	s_mul_i32 s2, s10, s17
	s_mul_hi_u32 s3, s10, s16
	s_add_i32 s2, s3, s2
	s_mul_i32 s3, s11, s16
	s_add_i32 s2, s2, s3
	s_mul_i32 s3, s10, s16
	s_waitcnt lgkmcnt(0)
	s_mul_i32 s14, s21, s5
	s_mul_hi_u32 s15, s20, s5
	s_mul_i32 s2, s2, 22
	s_mul_hi_u32 s37, s3, 22
	v_mov_b32_e32 v5, v3
	s_add_i32 s35, s15, s14
	s_mul_i32 s36, s20, s5
	s_add_i32 s37, s37, s2
	s_mul_i32 s38, s3, 22
	v_mov_b32_e32 v4, v2
	s_mov_b64 s[14:15], s[8:9]
.LBB50_6:                               ;   Parent Loop BB50_4 Depth=1
                                        ; =>  This Inner Loop Header: Depth=2
	s_mul_hi_u32 s2, s12, s14
	s_add_i32 s2, s14, s2
	s_lshr_b32 s2, s2, s13
	s_mul_i32 s3, s26, s2
	s_mul_i32 s39, s31, s2
	s_mul_hi_u32 s40, s30, s2
	s_mul_i32 s2, s30, s2
	s_add_i32 s3, s14, s3
	s_add_i32 s39, s40, s39
	s_mul_hi_u32 s40, s2, 22
	s_mul_i32 s41, s19, s3
	s_mul_hi_u32 s42, s18, s3
	s_mul_i32 s39, s39, 22
	s_mul_i32 s2, s2, 22
	;; [unrolled: 1-line block ×3, first 2 shown]
	s_add_i32 s41, s42, s41
	s_add_i32 s40, s40, s39
	s_mul_hi_u32 s39, s3, 22
	s_add_u32 s2, s24, s2
	s_mul_i32 s41, s41, 22
	s_mul_i32 s3, s3, 22
	s_addc_u32 s40, s25, s40
	s_add_i32 s39, s39, s41
	s_add_u32 s2, s2, s3
	s_addc_u32 s3, s40, s39
	s_add_u32 s2, s2, s38
	s_addc_u32 s3, s3, s37
	v_mad_u64_u32 v[9:10], s[2:3], v0, 22, s[2:3]
	s_add_u32 s14, s14, s5
	s_addc_u32 s15, s15, 0
	v_mad_u64_u32 v[11:12], s[2:3], v1, 22, v[10:11]
	v_add_co_u32_e32 v12, vcc, v9, v6
	v_mov_b32_e32 v10, v11
	v_addc_co_u32_e32 v13, vcc, 0, v11, vcc
	global_load_dword v11, v[9:10], off
	global_load_ushort v14, v[9:10], off offset:4
	global_load_ubyte v15, v[12:13], off offset:6
	v_mov_b32_e32 v10, s7
	v_mov_b32_e32 v9, s6
	v_cmp_ge_i64_e32 vcc, s[14:15], v[9:10]
	v_mov_b32_e32 v12, s35
	s_and_b64 vcc, exec, vcc
	s_waitcnt vmcnt(2)
	v_cvt_f32_f16_e32 v9, v11
	s_waitcnt vmcnt(1)
	v_perm_b32 v10, v11, v14, s27
	s_waitcnt vmcnt(0)
	v_lshrrev_b16_e32 v11, 4, v15
	v_lshrrev_b32_e32 v14, v6, v10
	v_lshrrev_b32_e32 v10, v7, v10
	v_or_b32_e32 v11, -16, v11
	v_lshlrev_b32_e32 v14, 4, v14
	v_and_b32_e32 v10, 16, v10
	v_or_b32_e32 v13, -16, v15
	v_and_b32_e32 v14, 16, v14
	v_add_u32_sdwa v10, v10, sext(v11) dst_sel:DWORD dst_unused:UNUSED_PAD src0_sel:DWORD src1_sel:WORD_0
	v_add_u32_e32 v11, v13, v14
	v_cvt_f32_i32_e32 v10, v10
	v_cvt_f32_i32_e32 v11, v11
	v_mul_f32_e32 v10, v9, v10
	v_mul_f32_e32 v9, v9, v11
	v_bfe_u32 v11, v10, 16, 1
	v_or_b32_e32 v13, 0x400000, v10
	v_bfe_u32 v14, v9, 16, 1
	v_add3_u32 v11, v11, v10, s34
	v_cmp_u_f32_e64 s[2:3], v10, v10
	v_or_b32_e32 v15, 0x400000, v9
	v_add3_u32 v10, v14, v9, s34
	v_cndmask_b32_e64 v11, v11, v13, s[2:3]
	v_cmp_u_f32_e64 s[2:3], v9, v9
	v_cndmask_b32_e64 v9, v10, v15, s[2:3]
	global_store_short_d16_hi v[4:5], v11, off
	global_store_short_d16_hi v[4:5], v9, off offset:-32
	v_add_co_u32_e64 v4, s[2:3], s36, v4
	v_addc_co_u32_e64 v5, s[2:3], v5, v12, s[2:3]
	s_cbranch_vccz .LBB50_6
	s_branch .LBB50_3
.LBB50_7:
	s_endpgm
	.section	.rodata,"a",@progbits
	.p2align	6, 0x0
	.amdhsa_kernel _ZL16dequantize_blockILi32ELi2EXadL_ZL15dequantize_q5_0PKvliR15HIP_vector_typeIfLj2EEEE14__hip_bfloat16EvS1_PT2_lllS2_IjLj3EElll
		.amdhsa_group_segment_fixed_size 0
		.amdhsa_private_segment_fixed_size 0
		.amdhsa_kernarg_size 336
		.amdhsa_user_sgpr_count 6
		.amdhsa_user_sgpr_private_segment_buffer 1
		.amdhsa_user_sgpr_dispatch_ptr 0
		.amdhsa_user_sgpr_queue_ptr 0
		.amdhsa_user_sgpr_kernarg_segment_ptr 1
		.amdhsa_user_sgpr_dispatch_id 0
		.amdhsa_user_sgpr_flat_scratch_init 0
		.amdhsa_user_sgpr_private_segment_size 0
		.amdhsa_uses_dynamic_stack 0
		.amdhsa_system_sgpr_private_segment_wavefront_offset 0
		.amdhsa_system_sgpr_workgroup_id_x 1
		.amdhsa_system_sgpr_workgroup_id_y 1
		.amdhsa_system_sgpr_workgroup_id_z 1
		.amdhsa_system_sgpr_workgroup_info 0
		.amdhsa_system_vgpr_workitem_id 0
		.amdhsa_next_free_vgpr 16
		.amdhsa_next_free_sgpr 43
		.amdhsa_reserve_vcc 1
		.amdhsa_reserve_flat_scratch 0
		.amdhsa_float_round_mode_32 0
		.amdhsa_float_round_mode_16_64 0
		.amdhsa_float_denorm_mode_32 3
		.amdhsa_float_denorm_mode_16_64 3
		.amdhsa_dx10_clamp 1
		.amdhsa_ieee_mode 1
		.amdhsa_fp16_overflow 0
		.amdhsa_exception_fp_ieee_invalid_op 0
		.amdhsa_exception_fp_denorm_src 0
		.amdhsa_exception_fp_ieee_div_zero 0
		.amdhsa_exception_fp_ieee_overflow 0
		.amdhsa_exception_fp_ieee_underflow 0
		.amdhsa_exception_fp_ieee_inexact 0
		.amdhsa_exception_int_div_zero 0
	.end_amdhsa_kernel
	.section	.text._ZL16dequantize_blockILi32ELi2EXadL_ZL15dequantize_q5_0PKvliR15HIP_vector_typeIfLj2EEEE14__hip_bfloat16EvS1_PT2_lllS2_IjLj3EElll,"axG",@progbits,_ZL16dequantize_blockILi32ELi2EXadL_ZL15dequantize_q5_0PKvliR15HIP_vector_typeIfLj2EEEE14__hip_bfloat16EvS1_PT2_lllS2_IjLj3EElll,comdat
.Lfunc_end50:
	.size	_ZL16dequantize_blockILi32ELi2EXadL_ZL15dequantize_q5_0PKvliR15HIP_vector_typeIfLj2EEEE14__hip_bfloat16EvS1_PT2_lllS2_IjLj3EElll, .Lfunc_end50-_ZL16dequantize_blockILi32ELi2EXadL_ZL15dequantize_q5_0PKvliR15HIP_vector_typeIfLj2EEEE14__hip_bfloat16EvS1_PT2_lllS2_IjLj3EElll
                                        ; -- End function
	.set _ZL16dequantize_blockILi32ELi2EXadL_ZL15dequantize_q5_0PKvliR15HIP_vector_typeIfLj2EEEE14__hip_bfloat16EvS1_PT2_lllS2_IjLj3EElll.num_vgpr, 16
	.set _ZL16dequantize_blockILi32ELi2EXadL_ZL15dequantize_q5_0PKvliR15HIP_vector_typeIfLj2EEEE14__hip_bfloat16EvS1_PT2_lllS2_IjLj3EElll.num_agpr, 0
	.set _ZL16dequantize_blockILi32ELi2EXadL_ZL15dequantize_q5_0PKvliR15HIP_vector_typeIfLj2EEEE14__hip_bfloat16EvS1_PT2_lllS2_IjLj3EElll.numbered_sgpr, 43
	.set _ZL16dequantize_blockILi32ELi2EXadL_ZL15dequantize_q5_0PKvliR15HIP_vector_typeIfLj2EEEE14__hip_bfloat16EvS1_PT2_lllS2_IjLj3EElll.num_named_barrier, 0
	.set _ZL16dequantize_blockILi32ELi2EXadL_ZL15dequantize_q5_0PKvliR15HIP_vector_typeIfLj2EEEE14__hip_bfloat16EvS1_PT2_lllS2_IjLj3EElll.private_seg_size, 0
	.set _ZL16dequantize_blockILi32ELi2EXadL_ZL15dequantize_q5_0PKvliR15HIP_vector_typeIfLj2EEEE14__hip_bfloat16EvS1_PT2_lllS2_IjLj3EElll.uses_vcc, 1
	.set _ZL16dequantize_blockILi32ELi2EXadL_ZL15dequantize_q5_0PKvliR15HIP_vector_typeIfLj2EEEE14__hip_bfloat16EvS1_PT2_lllS2_IjLj3EElll.uses_flat_scratch, 0
	.set _ZL16dequantize_blockILi32ELi2EXadL_ZL15dequantize_q5_0PKvliR15HIP_vector_typeIfLj2EEEE14__hip_bfloat16EvS1_PT2_lllS2_IjLj3EElll.has_dyn_sized_stack, 0
	.set _ZL16dequantize_blockILi32ELi2EXadL_ZL15dequantize_q5_0PKvliR15HIP_vector_typeIfLj2EEEE14__hip_bfloat16EvS1_PT2_lllS2_IjLj3EElll.has_recursion, 0
	.set _ZL16dequantize_blockILi32ELi2EXadL_ZL15dequantize_q5_0PKvliR15HIP_vector_typeIfLj2EEEE14__hip_bfloat16EvS1_PT2_lllS2_IjLj3EElll.has_indirect_call, 0
	.section	.AMDGPU.csdata,"",@progbits
; Kernel info:
; codeLenInByte = 892
; TotalNumSgprs: 47
; NumVgprs: 16
; ScratchSize: 0
; MemoryBound: 0
; FloatMode: 240
; IeeeMode: 1
; LDSByteSize: 0 bytes/workgroup (compile time only)
; SGPRBlocks: 5
; VGPRBlocks: 3
; NumSGPRsForWavesPerEU: 47
; NumVGPRsForWavesPerEU: 16
; Occupancy: 10
; WaveLimiterHint : 0
; COMPUTE_PGM_RSRC2:SCRATCH_EN: 0
; COMPUTE_PGM_RSRC2:USER_SGPR: 6
; COMPUTE_PGM_RSRC2:TRAP_HANDLER: 0
; COMPUTE_PGM_RSRC2:TGID_X_EN: 1
; COMPUTE_PGM_RSRC2:TGID_Y_EN: 1
; COMPUTE_PGM_RSRC2:TGID_Z_EN: 1
; COMPUTE_PGM_RSRC2:TIDIG_COMP_CNT: 0
	.section	.text._ZL16dequantize_blockILi32ELi2EXadL_ZL15dequantize_q5_1PKvliR15HIP_vector_typeIfLj2EEEE14__hip_bfloat16EvS1_PT2_lllS2_IjLj3EElll,"axG",@progbits,_ZL16dequantize_blockILi32ELi2EXadL_ZL15dequantize_q5_1PKvliR15HIP_vector_typeIfLj2EEEE14__hip_bfloat16EvS1_PT2_lllS2_IjLj3EElll,comdat
	.globl	_ZL16dequantize_blockILi32ELi2EXadL_ZL15dequantize_q5_1PKvliR15HIP_vector_typeIfLj2EEEE14__hip_bfloat16EvS1_PT2_lllS2_IjLj3EElll ; -- Begin function _ZL16dequantize_blockILi32ELi2EXadL_ZL15dequantize_q5_1PKvliR15HIP_vector_typeIfLj2EEEE14__hip_bfloat16EvS1_PT2_lllS2_IjLj3EElll
	.p2align	8
	.type	_ZL16dequantize_blockILi32ELi2EXadL_ZL15dequantize_q5_1PKvliR15HIP_vector_typeIfLj2EEEE14__hip_bfloat16EvS1_PT2_lllS2_IjLj3EElll,@function
_ZL16dequantize_blockILi32ELi2EXadL_ZL15dequantize_q5_1PKvliR15HIP_vector_typeIfLj2EEEE14__hip_bfloat16EvS1_PT2_lllS2_IjLj3EElll: ; @_ZL16dequantize_blockILi32ELi2EXadL_ZL15dequantize_q5_1PKvliR15HIP_vector_typeIfLj2EEEE14__hip_bfloat16EvS1_PT2_lllS2_IjLj3EElll
; %bb.0:
	s_load_dword s0, s[4:5], 0x5c
	s_add_u32 s24, s4, 0x50
	s_addc_u32 s25, s5, 0
	v_mov_b32_e32 v1, 0
	v_mov_b32_e32 v2, s6
	s_waitcnt lgkmcnt(0)
	s_and_b32 s0, s0, 0xffff
	v_mad_u64_u32 v[2:3], s[0:1], s0, v2, v[0:1]
	s_load_dwordx4 s[0:3], s[4:5], 0x10
	s_mov_b32 s10, s7
	v_lshlrev_b64 v[0:1], 1, v[2:3]
	s_waitcnt lgkmcnt(0)
	v_cmp_gt_i64_e32 vcc, s[0:1], v[0:1]
	s_and_saveexec_b64 s[6:7], vcc
	s_cbranch_execz .LBB51_7
; %bb.1:
	s_load_dwordx2 s[6:7], s[4:5], 0x20
	s_mov_b32 s11, 0
	v_mov_b32_e32 v0, s10
	v_mov_b32_e32 v1, s11
	v_cmp_le_i64_e32 vcc, s[2:3], v[0:1]
	s_cbranch_vccnz .LBB51_7
; %bb.2:
	s_load_dwordx4 s[20:23], s[4:5], 0x0
	s_load_dwordx8 s[12:19], s[4:5], 0x28
	s_load_dwordx2 s[26:27], s[4:5], 0x48
	s_mul_i32 s4, s3, s8
	s_mul_hi_u32 s5, s2, s8
	s_add_i32 s5, s5, s4
	s_mul_i32 s4, s2, s8
	s_add_u32 s4, s4, s10
	s_addc_u32 s5, s5, 0
	v_lshrrev_b64 v[0:1], 4, v[2:3]
	s_mul_i32 s5, s0, s5
	s_waitcnt lgkmcnt(0)
	s_mul_hi_u32 s15, s0, s4
	s_add_i32 s5, s15, s5
	s_mul_i32 s15, s1, s4
	v_and_b32_e32 v8, 15, v2
	s_add_i32 s5, s5, s15
	s_mul_i32 s4, s0, s4
	v_lshlrev_b64 v[2:3], 6, v[0:1]
	s_lshl_b64 s[4:5], s[4:5], 1
	v_mov_b32_e32 v6, s5
	v_add_co_u32_e32 v2, vcc, s4, v2
	v_addc_co_u32_e32 v3, vcc, v6, v3, vcc
	v_lshlrev_b32_e32 v6, 1, v8
	v_add_co_u32_e32 v2, vcc, v2, v6
	s_load_dword s28, s[24:25], 0x4
	v_addc_co_u32_e32 v3, vcc, 0, v3, vcc
	v_mov_b32_e32 v6, s23
	v_add_co_u32_e32 v2, vcc, s22, v2
	v_addc_co_u32_e32 v3, vcc, v6, v3, vcc
	s_mov_b32 s9, s11
	v_mov_b32_e32 v4, s8
	v_add_co_u32_e32 v2, vcc, 32, v2
	v_mov_b32_e32 v5, s9
	v_addc_co_u32_e32 v3, vcc, 0, v3, vcc
	s_waitcnt lgkmcnt(0)
	s_mul_i32 s4, s1, s28
	s_mul_i32 s1, s2, s1
	s_mul_hi_u32 s15, s2, s0
	v_cmp_gt_i64_e32 vcc, s[6:7], v[4:5]
	s_mul_hi_u32 s5, s0, s28
	s_add_i32 s1, s15, s1
	s_mul_i32 s15, s3, s0
	s_add_i32 s5, s5, s4
	s_mul_i32 s4, s0, s28
	;; [unrolled: 2-line block ×3, first 2 shown]
	v_cndmask_b32_e64 v4, 0, 1, vcc
	s_lshl_b64 s[4:5], s[4:5], 1
	s_lshl_b64 s[22:23], s[0:1], 1
	v_cmp_ne_u32_e64 s[0:1], 1, v4
	v_mov_b32_e32 v5, s3
	v_add_u32_e32 v9, 12, v8
	s_sub_i32 s29, 0, s14
	s_movk_i32 s30, 0x7fff
	v_mov_b32_e32 v10, s5
	v_mov_b32_e32 v4, s2
	s_branch .LBB51_4
.LBB51_3:                               ;   in Loop: Header=BB51_4 Depth=1
	s_add_u32 s10, s10, s28
	s_addc_u32 s11, s11, 0
	v_cmp_ge_i64_e32 vcc, s[10:11], v[4:5]
	v_add_co_u32_e64 v2, s[2:3], s4, v2
	v_addc_co_u32_e64 v3, s[2:3], v3, v10, s[2:3]
	s_cbranch_vccnz .LBB51_7
.LBB51_4:                               ; =>This Loop Header: Depth=1
                                        ;     Child Loop BB51_6 Depth 2
	s_and_b64 vcc, exec, s[0:1]
	s_cbranch_vccnz .LBB51_3
; %bb.5:                                ;   in Loop: Header=BB51_4 Depth=1
	s_load_dword s5, s[24:25], 0x8
	s_mul_i32 s2, s10, s17
	s_mul_hi_u32 s3, s10, s16
	s_add_i32 s2, s3, s2
	s_mul_i32 s3, s11, s16
	s_add_i32 s2, s2, s3
	s_mul_i32 s3, s10, s16
	s_waitcnt lgkmcnt(0)
	s_mul_i32 s14, s23, s5
	s_mul_hi_u32 s15, s22, s5
	s_mul_i32 s2, s2, 24
	s_mul_hi_u32 s34, s3, 24
	v_mov_b32_e32 v7, v3
	s_add_i32 s31, s15, s14
	s_mul_i32 s33, s22, s5
	s_add_i32 s34, s34, s2
	s_mul_i32 s35, s3, 24
	v_mov_b32_e32 v6, v2
	s_mov_b64 s[14:15], s[8:9]
.LBB51_6:                               ;   Parent Loop BB51_4 Depth=1
                                        ; =>  This Inner Loop Header: Depth=2
	s_mul_hi_u32 s2, s12, s14
	s_add_i32 s2, s14, s2
	s_lshr_b32 s2, s2, s13
	s_mul_i32 s3, s29, s2
	s_mul_i32 s36, s27, s2
	s_mul_hi_u32 s37, s26, s2
	s_mul_i32 s2, s26, s2
	s_add_i32 s3, s14, s3
	s_add_i32 s36, s37, s36
	s_mul_hi_u32 s37, s2, 24
	s_mul_i32 s38, s19, s3
	s_mul_hi_u32 s39, s18, s3
	s_mul_i32 s36, s36, 24
	s_mul_i32 s2, s2, 24
	;; [unrolled: 1-line block ×3, first 2 shown]
	s_add_i32 s38, s39, s38
	s_add_i32 s37, s37, s36
	s_mul_hi_u32 s36, s3, 24
	s_add_u32 s2, s20, s2
	s_mul_i32 s38, s38, 24
	s_mul_i32 s3, s3, 24
	s_addc_u32 s37, s21, s37
	s_add_i32 s36, s36, s38
	s_add_u32 s2, s2, s3
	s_addc_u32 s3, s37, s36
	s_add_u32 s2, s2, s35
	s_addc_u32 s3, s3, s34
	v_mad_u64_u32 v[11:12], s[2:3], v0, 24, s[2:3]
	s_add_u32 s14, s14, s5
	s_addc_u32 s15, s15, 0
	v_mad_u64_u32 v[13:14], s[2:3], v1, 24, v[12:13]
	v_add_co_u32_e32 v14, vcc, v11, v8
	v_mov_b32_e32 v12, v13
	v_addc_co_u32_e32 v15, vcc, 0, v13, vcc
	global_load_dwordx2 v[16:17], v[11:12], off
	global_load_ubyte v13, v[14:15], off offset:8
	v_mov_b32_e32 v12, s7
	v_mov_b32_e32 v11, s6
	v_cmp_ge_i64_e32 vcc, s[14:15], v[11:12]
	v_mov_b32_e32 v14, s31
	s_and_b64 vcc, exec, vcc
	s_waitcnt vmcnt(1)
	v_lshrrev_b32_e32 v11, v8, v17
	v_lshrrev_b32_e32 v12, v9, v17
	s_waitcnt vmcnt(0)
	v_and_b32_e32 v15, 15, v13
	v_lshrrev_b16_e32 v13, 4, v13
	v_lshlrev_b32_e32 v11, 4, v11
	v_and_or_b32 v12, v12, 16, v13
	v_and_or_b32 v11, v11, 16, v15
	v_cvt_f32_ubyte0_e32 v12, v12
	v_cvt_f32_ubyte0_e32 v11, v11
	v_fma_mix_f32 v12, v16, v12, v16 op_sel:[0,0,1] op_sel_hi:[1,0,1]
	v_fma_mix_f32 v11, v16, v11, v16 op_sel:[0,0,1] op_sel_hi:[1,0,1]
	v_bfe_u32 v13, v12, 16, 1
	v_or_b32_e32 v15, 0x400000, v12
	v_bfe_u32 v16, v11, 16, 1
	v_add3_u32 v13, v13, v12, s30
	v_cmp_u_f32_e64 s[2:3], v12, v12
	v_or_b32_e32 v17, 0x400000, v11
	v_add3_u32 v12, v16, v11, s30
	v_cndmask_b32_e64 v13, v13, v15, s[2:3]
	v_cmp_u_f32_e64 s[2:3], v11, v11
	v_cndmask_b32_e64 v11, v12, v17, s[2:3]
	global_store_short_d16_hi v[6:7], v13, off
	global_store_short_d16_hi v[6:7], v11, off offset:-32
	v_add_co_u32_e64 v6, s[2:3], s33, v6
	v_addc_co_u32_e64 v7, s[2:3], v7, v14, s[2:3]
	s_cbranch_vccz .LBB51_6
	s_branch .LBB51_3
.LBB51_7:
	s_endpgm
	.section	.rodata,"a",@progbits
	.p2align	6, 0x0
	.amdhsa_kernel _ZL16dequantize_blockILi32ELi2EXadL_ZL15dequantize_q5_1PKvliR15HIP_vector_typeIfLj2EEEE14__hip_bfloat16EvS1_PT2_lllS2_IjLj3EElll
		.amdhsa_group_segment_fixed_size 0
		.amdhsa_private_segment_fixed_size 0
		.amdhsa_kernarg_size 336
		.amdhsa_user_sgpr_count 6
		.amdhsa_user_sgpr_private_segment_buffer 1
		.amdhsa_user_sgpr_dispatch_ptr 0
		.amdhsa_user_sgpr_queue_ptr 0
		.amdhsa_user_sgpr_kernarg_segment_ptr 1
		.amdhsa_user_sgpr_dispatch_id 0
		.amdhsa_user_sgpr_flat_scratch_init 0
		.amdhsa_user_sgpr_private_segment_size 0
		.amdhsa_uses_dynamic_stack 0
		.amdhsa_system_sgpr_private_segment_wavefront_offset 0
		.amdhsa_system_sgpr_workgroup_id_x 1
		.amdhsa_system_sgpr_workgroup_id_y 1
		.amdhsa_system_sgpr_workgroup_id_z 1
		.amdhsa_system_sgpr_workgroup_info 0
		.amdhsa_system_vgpr_workitem_id 0
		.amdhsa_next_free_vgpr 18
		.amdhsa_next_free_sgpr 40
		.amdhsa_reserve_vcc 1
		.amdhsa_reserve_flat_scratch 0
		.amdhsa_float_round_mode_32 0
		.amdhsa_float_round_mode_16_64 0
		.amdhsa_float_denorm_mode_32 3
		.amdhsa_float_denorm_mode_16_64 3
		.amdhsa_dx10_clamp 1
		.amdhsa_ieee_mode 1
		.amdhsa_fp16_overflow 0
		.amdhsa_exception_fp_ieee_invalid_op 0
		.amdhsa_exception_fp_denorm_src 0
		.amdhsa_exception_fp_ieee_div_zero 0
		.amdhsa_exception_fp_ieee_overflow 0
		.amdhsa_exception_fp_ieee_underflow 0
		.amdhsa_exception_fp_ieee_inexact 0
		.amdhsa_exception_int_div_zero 0
	.end_amdhsa_kernel
	.section	.text._ZL16dequantize_blockILi32ELi2EXadL_ZL15dequantize_q5_1PKvliR15HIP_vector_typeIfLj2EEEE14__hip_bfloat16EvS1_PT2_lllS2_IjLj3EElll,"axG",@progbits,_ZL16dequantize_blockILi32ELi2EXadL_ZL15dequantize_q5_1PKvliR15HIP_vector_typeIfLj2EEEE14__hip_bfloat16EvS1_PT2_lllS2_IjLj3EElll,comdat
.Lfunc_end51:
	.size	_ZL16dequantize_blockILi32ELi2EXadL_ZL15dequantize_q5_1PKvliR15HIP_vector_typeIfLj2EEEE14__hip_bfloat16EvS1_PT2_lllS2_IjLj3EElll, .Lfunc_end51-_ZL16dequantize_blockILi32ELi2EXadL_ZL15dequantize_q5_1PKvliR15HIP_vector_typeIfLj2EEEE14__hip_bfloat16EvS1_PT2_lllS2_IjLj3EElll
                                        ; -- End function
	.set _ZL16dequantize_blockILi32ELi2EXadL_ZL15dequantize_q5_1PKvliR15HIP_vector_typeIfLj2EEEE14__hip_bfloat16EvS1_PT2_lllS2_IjLj3EElll.num_vgpr, 18
	.set _ZL16dequantize_blockILi32ELi2EXadL_ZL15dequantize_q5_1PKvliR15HIP_vector_typeIfLj2EEEE14__hip_bfloat16EvS1_PT2_lllS2_IjLj3EElll.num_agpr, 0
	.set _ZL16dequantize_blockILi32ELi2EXadL_ZL15dequantize_q5_1PKvliR15HIP_vector_typeIfLj2EEEE14__hip_bfloat16EvS1_PT2_lllS2_IjLj3EElll.numbered_sgpr, 40
	.set _ZL16dequantize_blockILi32ELi2EXadL_ZL15dequantize_q5_1PKvliR15HIP_vector_typeIfLj2EEEE14__hip_bfloat16EvS1_PT2_lllS2_IjLj3EElll.num_named_barrier, 0
	.set _ZL16dequantize_blockILi32ELi2EXadL_ZL15dequantize_q5_1PKvliR15HIP_vector_typeIfLj2EEEE14__hip_bfloat16EvS1_PT2_lllS2_IjLj3EElll.private_seg_size, 0
	.set _ZL16dequantize_blockILi32ELi2EXadL_ZL15dequantize_q5_1PKvliR15HIP_vector_typeIfLj2EEEE14__hip_bfloat16EvS1_PT2_lllS2_IjLj3EElll.uses_vcc, 1
	.set _ZL16dequantize_blockILi32ELi2EXadL_ZL15dequantize_q5_1PKvliR15HIP_vector_typeIfLj2EEEE14__hip_bfloat16EvS1_PT2_lllS2_IjLj3EElll.uses_flat_scratch, 0
	.set _ZL16dequantize_blockILi32ELi2EXadL_ZL15dequantize_q5_1PKvliR15HIP_vector_typeIfLj2EEEE14__hip_bfloat16EvS1_PT2_lllS2_IjLj3EElll.has_dyn_sized_stack, 0
	.set _ZL16dequantize_blockILi32ELi2EXadL_ZL15dequantize_q5_1PKvliR15HIP_vector_typeIfLj2EEEE14__hip_bfloat16EvS1_PT2_lllS2_IjLj3EElll.has_recursion, 0
	.set _ZL16dequantize_blockILi32ELi2EXadL_ZL15dequantize_q5_1PKvliR15HIP_vector_typeIfLj2EEEE14__hip_bfloat16EvS1_PT2_lllS2_IjLj3EElll.has_indirect_call, 0
	.section	.AMDGPU.csdata,"",@progbits
; Kernel info:
; codeLenInByte = 868
; TotalNumSgprs: 44
; NumVgprs: 18
; ScratchSize: 0
; MemoryBound: 0
; FloatMode: 240
; IeeeMode: 1
; LDSByteSize: 0 bytes/workgroup (compile time only)
; SGPRBlocks: 5
; VGPRBlocks: 4
; NumSGPRsForWavesPerEU: 44
; NumVGPRsForWavesPerEU: 18
; Occupancy: 10
; WaveLimiterHint : 0
; COMPUTE_PGM_RSRC2:SCRATCH_EN: 0
; COMPUTE_PGM_RSRC2:USER_SGPR: 6
; COMPUTE_PGM_RSRC2:TRAP_HANDLER: 0
; COMPUTE_PGM_RSRC2:TGID_X_EN: 1
; COMPUTE_PGM_RSRC2:TGID_Y_EN: 1
; COMPUTE_PGM_RSRC2:TGID_Z_EN: 1
; COMPUTE_PGM_RSRC2:TIDIG_COMP_CNT: 0
	.section	.text._ZL16dequantize_blockILi32ELi1EXadL_ZL15dequantize_q8_0PKvliR15HIP_vector_typeIfLj2EEEE14__hip_bfloat16EvS1_PT2_lllS2_IjLj3EElll,"axG",@progbits,_ZL16dequantize_blockILi32ELi1EXadL_ZL15dequantize_q8_0PKvliR15HIP_vector_typeIfLj2EEEE14__hip_bfloat16EvS1_PT2_lllS2_IjLj3EElll,comdat
	.globl	_ZL16dequantize_blockILi32ELi1EXadL_ZL15dequantize_q8_0PKvliR15HIP_vector_typeIfLj2EEEE14__hip_bfloat16EvS1_PT2_lllS2_IjLj3EElll ; -- Begin function _ZL16dequantize_blockILi32ELi1EXadL_ZL15dequantize_q8_0PKvliR15HIP_vector_typeIfLj2EEEE14__hip_bfloat16EvS1_PT2_lllS2_IjLj3EElll
	.p2align	8
	.type	_ZL16dequantize_blockILi32ELi1EXadL_ZL15dequantize_q8_0PKvliR15HIP_vector_typeIfLj2EEEE14__hip_bfloat16EvS1_PT2_lllS2_IjLj3EElll,@function
_ZL16dequantize_blockILi32ELi1EXadL_ZL15dequantize_q8_0PKvliR15HIP_vector_typeIfLj2EEEE14__hip_bfloat16EvS1_PT2_lllS2_IjLj3EElll: ; @_ZL16dequantize_blockILi32ELi1EXadL_ZL15dequantize_q8_0PKvliR15HIP_vector_typeIfLj2EEEE14__hip_bfloat16EvS1_PT2_lllS2_IjLj3EElll
; %bb.0:
	s_load_dword s0, s[4:5], 0x5c
	s_load_dwordx4 s[20:23], s[4:5], 0x10
	s_add_u32 s28, s4, 0x50
	s_addc_u32 s29, s5, 0
	v_mov_b32_e32 v1, 0
	s_waitcnt lgkmcnt(0)
	s_and_b32 s1, s0, 0xffff
	v_mov_b32_e32 v2, s6
	v_mad_u64_u32 v[1:2], s[2:3], s1, v2, v[0:1]
	v_lshlrev_b64 v[3:4], 1, v[1:2]
	v_cmp_gt_i64_e32 vcc, s[20:21], v[3:4]
	s_and_saveexec_b64 s[2:3], vcc
	s_cbranch_execz .LBB52_7
; %bb.1:
	s_mov_b32 s10, s7
	s_load_dwordx2 s[30:31], s[4:5], 0x20
	s_mov_b32 s11, 0
	v_mov_b32_e32 v4, s10
	v_mov_b32_e32 v5, s11
	v_cmp_le_i64_e32 vcc, s[22:23], v[4:5]
	s_cbranch_vccnz .LBB52_7
; %bb.2:
	s_mul_i32 s1, s23, s8
	s_mul_hi_u32 s2, s22, s8
	s_add_i32 s2, s2, s1
	s_mul_i32 s1, s22, s8
	s_add_u32 s1, s1, s10
	s_addc_u32 s2, s2, 0
	v_lshrrev_b64 v[1:2], 4, v[1:2]
	s_mul_i32 s2, s20, s2
	s_mul_hi_u32 s3, s20, s1
	s_add_i32 s2, s3, s2
	s_mul_i32 s3, s21, s1
	v_and_b32_e32 v7, 30, v3
	s_add_i32 s3, s2, s3
	s_mul_i32 s2, s20, s1
	v_lshlrev_b64 v[3:4], 6, v[1:2]
	s_mul_i32 s6, s6, s0
	s_lshl_b64 s[2:3], s[2:3], 1
	v_add_u16_e32 v0, s6, v0
	v_mov_b32_e32 v8, s3
	v_add_co_u32_e32 v3, vcc, s2, v3
	v_and_b32_e32 v0, 15, v0
	s_load_dwordx4 s[24:27], s[4:5], 0x0
	s_load_dwordx8 s[12:19], s[4:5], 0x28
	s_load_dwordx2 s[34:35], s[4:5], 0x48
	s_load_dword s33, s[28:29], 0x4
	v_addc_co_u32_e32 v4, vcc, v8, v4, vcc
	v_lshlrev_b32_e32 v0, 2, v0
	v_add_co_u32_e32 v0, vcc, v3, v0
	v_addc_co_u32_e32 v3, vcc, 0, v4, vcc
	s_waitcnt lgkmcnt(0)
	v_mov_b32_e32 v4, s27
	v_add_co_u32_e32 v0, vcc, s26, v0
	v_addc_co_u32_e32 v4, vcc, v4, v3, vcc
	s_mov_b32 s9, s11
	v_mov_b32_e32 v5, s8
	v_add_co_u32_e32 v3, vcc, 2, v0
	s_mul_i32 s0, s21, s33
	s_mul_hi_u32 s1, s20, s33
	v_mov_b32_e32 v6, s9
	v_addc_co_u32_e32 v4, vcc, 0, v4, vcc
	s_add_i32 s1, s1, s0
	s_mul_i32 s0, s20, s33
	s_lshl_b64 s[6:7], s[0:1], 1
	s_mul_i32 s0, s22, s21
	s_mul_hi_u32 s1, s22, s20
	v_cmp_gt_i64_e32 vcc, s[30:31], v[5:6]
	s_add_i32 s0, s1, s0
	s_mul_i32 s1, s23, s20
	s_add_i32 s1, s0, s1
	s_mul_i32 s0, s22, s20
	v_cndmask_b32_e64 v0, 0, 1, vcc
	s_lshl_b64 s[20:21], s[0:1], 1
	s_sub_i32 s26, 0, s14
	v_cmp_ne_u32_e64 s[0:1], 1, v0
	s_movk_i32 s27, 0x7fff
	s_mov_b32 s36, 0x7060302
	v_mov_b32_e32 v0, s7
	s_branch .LBB52_4
.LBB52_3:                               ;   in Loop: Header=BB52_4 Depth=1
	s_add_u32 s10, s10, s33
	v_mov_b32_e32 v5, s22
	s_addc_u32 s11, s11, 0
	v_mov_b32_e32 v6, s23
	v_cmp_ge_i64_e32 vcc, s[10:11], v[5:6]
	v_add_co_u32_e64 v3, s[2:3], s6, v3
	v_addc_co_u32_e64 v4, s[2:3], v4, v0, s[2:3]
	s_cbranch_vccnz .LBB52_7
.LBB52_4:                               ; =>This Loop Header: Depth=1
                                        ;     Child Loop BB52_6 Depth 2
	s_and_b64 vcc, exec, s[0:1]
	s_cbranch_vccnz .LBB52_3
; %bb.5:                                ;   in Loop: Header=BB52_4 Depth=1
	s_load_dword s7, s[28:29], 0x8
	s_mul_i32 s2, s10, s17
	s_mul_hi_u32 s3, s10, s16
	s_add_i32 s2, s3, s2
	s_mul_i32 s3, s11, s16
	s_add_i32 s2, s2, s3
	s_mul_i32 s3, s10, s16
	s_waitcnt lgkmcnt(0)
	s_mul_i32 s4, s21, s7
	s_mul_hi_u32 s5, s20, s7
	s_mul_i32 s2, s2, 34
	s_mul_hi_u32 s39, s3, 34
	v_mov_b32_e32 v6, v4
	s_add_i32 s37, s5, s4
	s_mul_i32 s38, s20, s7
	s_add_i32 s39, s39, s2
	s_mul_i32 s40, s3, 34
	v_mov_b32_e32 v5, v3
	s_mov_b64 s[14:15], s[8:9]
.LBB52_6:                               ;   Parent Loop BB52_4 Depth=1
                                        ; =>  This Inner Loop Header: Depth=2
	s_mul_hi_u32 s2, s12, s14
	s_add_i32 s2, s14, s2
	s_lshr_b32 s2, s2, s13
	s_mul_i32 s3, s26, s2
	s_mul_i32 s4, s35, s2
	s_mul_hi_u32 s5, s34, s2
	s_mul_i32 s2, s34, s2
	s_add_i32 s3, s14, s3
	s_add_i32 s4, s5, s4
	s_mul_hi_u32 s5, s2, 34
	s_mul_i32 s41, s19, s3
	s_mul_hi_u32 s42, s18, s3
	s_mul_i32 s4, s4, 34
	s_mul_i32 s2, s2, 34
	;; [unrolled: 1-line block ×3, first 2 shown]
	s_add_i32 s41, s42, s41
	s_add_i32 s5, s5, s4
	s_mul_hi_u32 s4, s3, 34
	s_add_u32 s2, s24, s2
	s_mul_i32 s41, s41, 34
	s_mul_i32 s3, s3, 34
	s_addc_u32 s5, s25, s5
	s_add_i32 s4, s4, s41
	s_add_u32 s2, s2, s3
	s_addc_u32 s3, s5, s4
	s_add_u32 s2, s2, s40
	s_addc_u32 s3, s3, s39
	v_mad_u64_u32 v[8:9], s[2:3], v1, 34, s[2:3]
	s_add_u32 s14, s14, s7
	s_addc_u32 s15, s15, 0
	v_mad_u64_u32 v[10:11], s[2:3], v2, 34, v[9:10]
	v_add_co_u32_e32 v11, vcc, v8, v7
	v_mov_b32_e32 v9, v10
	v_addc_co_u32_e32 v12, vcc, 0, v10, vcc
	global_load_ushort v10, v[8:9], off
	global_load_ushort v13, v[11:12], off offset:2
	v_mov_b32_e32 v8, s30
	v_mov_b32_e32 v9, s31
	v_cmp_ge_i64_e32 vcc, s[14:15], v[8:9]
	v_mov_b32_e32 v11, s37
	s_and_b64 vcc, exec, vcc
	s_waitcnt vmcnt(1)
	v_cvt_f32_f16_e32 v8, v10
	s_waitcnt vmcnt(0)
	v_bfe_i32 v9, v13, 0, 8
	v_ashrrev_i16_e32 v10, 8, v13
	v_cvt_f32_i32_sdwa v9, sext(v9) dst_sel:DWORD dst_unused:UNUSED_PAD src0_sel:WORD_0
	v_cvt_f32_i32_sdwa v10, sext(v10) dst_sel:DWORD dst_unused:UNUSED_PAD src0_sel:WORD_0
	v_mul_f32_e32 v9, v8, v9
	v_mul_f32_e32 v8, v8, v10
	v_bfe_u32 v10, v9, 16, 1
	v_bfe_u32 v13, v8, 16, 1
	v_or_b32_e32 v12, 0x400000, v9
	v_or_b32_e32 v14, 0x400000, v8
	v_add3_u32 v10, v10, v9, s27
	v_add3_u32 v13, v13, v8, s27
	v_cmp_u_f32_e64 s[2:3], v8, v8
	v_cmp_u_f32_e64 s[4:5], v9, v9
	v_cndmask_b32_e64 v8, v10, v12, s[4:5]
	v_cndmask_b32_e64 v9, v13, v14, s[2:3]
	v_perm_b32 v8, v9, v8, s36
	global_store_dword v[5:6], v8, off offset:-2
	v_add_co_u32_e64 v5, s[2:3], s38, v5
	v_addc_co_u32_e64 v6, s[2:3], v6, v11, s[2:3]
	s_cbranch_vccz .LBB52_6
	s_branch .LBB52_3
.LBB52_7:
	s_endpgm
	.section	.rodata,"a",@progbits
	.p2align	6, 0x0
	.amdhsa_kernel _ZL16dequantize_blockILi32ELi1EXadL_ZL15dequantize_q8_0PKvliR15HIP_vector_typeIfLj2EEEE14__hip_bfloat16EvS1_PT2_lllS2_IjLj3EElll
		.amdhsa_group_segment_fixed_size 0
		.amdhsa_private_segment_fixed_size 0
		.amdhsa_kernarg_size 336
		.amdhsa_user_sgpr_count 6
		.amdhsa_user_sgpr_private_segment_buffer 1
		.amdhsa_user_sgpr_dispatch_ptr 0
		.amdhsa_user_sgpr_queue_ptr 0
		.amdhsa_user_sgpr_kernarg_segment_ptr 1
		.amdhsa_user_sgpr_dispatch_id 0
		.amdhsa_user_sgpr_flat_scratch_init 0
		.amdhsa_user_sgpr_private_segment_size 0
		.amdhsa_uses_dynamic_stack 0
		.amdhsa_system_sgpr_private_segment_wavefront_offset 0
		.amdhsa_system_sgpr_workgroup_id_x 1
		.amdhsa_system_sgpr_workgroup_id_y 1
		.amdhsa_system_sgpr_workgroup_id_z 1
		.amdhsa_system_sgpr_workgroup_info 0
		.amdhsa_system_vgpr_workitem_id 0
		.amdhsa_next_free_vgpr 15
		.amdhsa_next_free_sgpr 43
		.amdhsa_reserve_vcc 1
		.amdhsa_reserve_flat_scratch 0
		.amdhsa_float_round_mode_32 0
		.amdhsa_float_round_mode_16_64 0
		.amdhsa_float_denorm_mode_32 3
		.amdhsa_float_denorm_mode_16_64 3
		.amdhsa_dx10_clamp 1
		.amdhsa_ieee_mode 1
		.amdhsa_fp16_overflow 0
		.amdhsa_exception_fp_ieee_invalid_op 0
		.amdhsa_exception_fp_denorm_src 0
		.amdhsa_exception_fp_ieee_div_zero 0
		.amdhsa_exception_fp_ieee_overflow 0
		.amdhsa_exception_fp_ieee_underflow 0
		.amdhsa_exception_fp_ieee_inexact 0
		.amdhsa_exception_int_div_zero 0
	.end_amdhsa_kernel
	.section	.text._ZL16dequantize_blockILi32ELi1EXadL_ZL15dequantize_q8_0PKvliR15HIP_vector_typeIfLj2EEEE14__hip_bfloat16EvS1_PT2_lllS2_IjLj3EElll,"axG",@progbits,_ZL16dequantize_blockILi32ELi1EXadL_ZL15dequantize_q8_0PKvliR15HIP_vector_typeIfLj2EEEE14__hip_bfloat16EvS1_PT2_lllS2_IjLj3EElll,comdat
.Lfunc_end52:
	.size	_ZL16dequantize_blockILi32ELi1EXadL_ZL15dequantize_q8_0PKvliR15HIP_vector_typeIfLj2EEEE14__hip_bfloat16EvS1_PT2_lllS2_IjLj3EElll, .Lfunc_end52-_ZL16dequantize_blockILi32ELi1EXadL_ZL15dequantize_q8_0PKvliR15HIP_vector_typeIfLj2EEEE14__hip_bfloat16EvS1_PT2_lllS2_IjLj3EElll
                                        ; -- End function
	.set _ZL16dequantize_blockILi32ELi1EXadL_ZL15dequantize_q8_0PKvliR15HIP_vector_typeIfLj2EEEE14__hip_bfloat16EvS1_PT2_lllS2_IjLj3EElll.num_vgpr, 15
	.set _ZL16dequantize_blockILi32ELi1EXadL_ZL15dequantize_q8_0PKvliR15HIP_vector_typeIfLj2EEEE14__hip_bfloat16EvS1_PT2_lllS2_IjLj3EElll.num_agpr, 0
	.set _ZL16dequantize_blockILi32ELi1EXadL_ZL15dequantize_q8_0PKvliR15HIP_vector_typeIfLj2EEEE14__hip_bfloat16EvS1_PT2_lllS2_IjLj3EElll.numbered_sgpr, 43
	.set _ZL16dequantize_blockILi32ELi1EXadL_ZL15dequantize_q8_0PKvliR15HIP_vector_typeIfLj2EEEE14__hip_bfloat16EvS1_PT2_lllS2_IjLj3EElll.num_named_barrier, 0
	.set _ZL16dequantize_blockILi32ELi1EXadL_ZL15dequantize_q8_0PKvliR15HIP_vector_typeIfLj2EEEE14__hip_bfloat16EvS1_PT2_lllS2_IjLj3EElll.private_seg_size, 0
	.set _ZL16dequantize_blockILi32ELi1EXadL_ZL15dequantize_q8_0PKvliR15HIP_vector_typeIfLj2EEEE14__hip_bfloat16EvS1_PT2_lllS2_IjLj3EElll.uses_vcc, 1
	.set _ZL16dequantize_blockILi32ELi1EXadL_ZL15dequantize_q8_0PKvliR15HIP_vector_typeIfLj2EEEE14__hip_bfloat16EvS1_PT2_lllS2_IjLj3EElll.uses_flat_scratch, 0
	.set _ZL16dequantize_blockILi32ELi1EXadL_ZL15dequantize_q8_0PKvliR15HIP_vector_typeIfLj2EEEE14__hip_bfloat16EvS1_PT2_lllS2_IjLj3EElll.has_dyn_sized_stack, 0
	.set _ZL16dequantize_blockILi32ELi1EXadL_ZL15dequantize_q8_0PKvliR15HIP_vector_typeIfLj2EEEE14__hip_bfloat16EvS1_PT2_lllS2_IjLj3EElll.has_recursion, 0
	.set _ZL16dequantize_blockILi32ELi1EXadL_ZL15dequantize_q8_0PKvliR15HIP_vector_typeIfLj2EEEE14__hip_bfloat16EvS1_PT2_lllS2_IjLj3EElll.has_indirect_call, 0
	.section	.AMDGPU.csdata,"",@progbits
; Kernel info:
; codeLenInByte = 856
; TotalNumSgprs: 47
; NumVgprs: 15
; ScratchSize: 0
; MemoryBound: 0
; FloatMode: 240
; IeeeMode: 1
; LDSByteSize: 0 bytes/workgroup (compile time only)
; SGPRBlocks: 5
; VGPRBlocks: 3
; NumSGPRsForWavesPerEU: 47
; NumVGPRsForWavesPerEU: 15
; Occupancy: 10
; WaveLimiterHint : 0
; COMPUTE_PGM_RSRC2:SCRATCH_EN: 0
; COMPUTE_PGM_RSRC2:USER_SGPR: 6
; COMPUTE_PGM_RSRC2:TRAP_HANDLER: 0
; COMPUTE_PGM_RSRC2:TGID_X_EN: 1
; COMPUTE_PGM_RSRC2:TGID_Y_EN: 1
; COMPUTE_PGM_RSRC2:TGID_Z_EN: 1
; COMPUTE_PGM_RSRC2:TIDIG_COMP_CNT: 0
	.section	.text._ZL13convert_unaryI6__half14__hip_bfloat16EvPKvPT0_lll15HIP_vector_typeIjLj3EElll,"axG",@progbits,_ZL13convert_unaryI6__half14__hip_bfloat16EvPKvPT0_lll15HIP_vector_typeIjLj3EElll,comdat
	.globl	_ZL13convert_unaryI6__half14__hip_bfloat16EvPKvPT0_lll15HIP_vector_typeIjLj3EElll ; -- Begin function _ZL13convert_unaryI6__half14__hip_bfloat16EvPKvPT0_lll15HIP_vector_typeIjLj3EElll
	.p2align	8
	.type	_ZL13convert_unaryI6__half14__hip_bfloat16EvPKvPT0_lll15HIP_vector_typeIjLj3EElll,@function
_ZL13convert_unaryI6__half14__hip_bfloat16EvPKvPT0_lll15HIP_vector_typeIjLj3EElll: ; @_ZL13convert_unaryI6__half14__hip_bfloat16EvPKvPT0_lll15HIP_vector_typeIjLj3EElll
; %bb.0:
	s_load_dword s0, s[4:5], 0x5c
	s_load_dwordx4 s[20:23], s[4:5], 0x10
	s_add_u32 s28, s4, 0x50
	s_addc_u32 s29, s5, 0
	v_mov_b32_e32 v1, 0
	s_waitcnt lgkmcnt(0)
	s_and_b32 s0, s0, 0xffff
	v_mov_b32_e32 v2, s6
	v_mad_u64_u32 v[0:1], s[0:1], s0, v2, v[0:1]
	v_cmp_gt_i64_e32 vcc, s[20:21], v[0:1]
	s_and_saveexec_b64 s[0:1], vcc
	s_cbranch_execz .LBB53_16
; %bb.1:
	s_mov_b32 s10, s7
	s_load_dwordx2 s[6:7], s[4:5], 0x20
	s_mov_b32 s11, 0
	v_mov_b32_e32 v2, s10
	v_mov_b32_e32 v3, s11
	v_cmp_le_i64_e32 vcc, s[22:23], v[2:3]
	s_cbranch_vccnz .LBB53_16
; %bb.2:
	s_load_dwordx4 s[24:27], s[4:5], 0x0
	s_load_dwordx8 s[12:19], s[4:5], 0x28
	s_load_dwordx2 s[30:31], s[4:5], 0x48
	s_waitcnt lgkmcnt(0)
	s_load_dword s15, s[28:29], 0x4
	s_mul_i32 s0, s22, s21
	s_mul_hi_u32 s1, s22, s20
	s_mov_b32 s9, s11
	v_lshlrev_b64 v[0:1], 1, v[0:1]
	v_mov_b32_e32 v4, s8
	s_add_i32 s0, s1, s0
	s_mul_i32 s1, s23, s20
	v_mov_b32_e32 v5, s9
	s_add_i32 s1, s0, s1
	s_mul_i32 s0, s22, s20
	v_mov_b32_e32 v3, s27
	v_add_co_u32_e32 v2, vcc, s26, v0
	s_mov_b32 s58, s20
	s_mov_b32 s59, s21
	;; [unrolled: 1-line block ×4, first 2 shown]
	s_lshl_b64 s[4:5], s[20:21], 1
	s_lshl_b64 s[20:21], s[0:1], 1
	v_cmp_gt_i64_e64 s[0:1], s[6:7], v[4:5]
	v_mov_b32_e32 v4, s6
	v_mov_b32_e32 v6, s22
	v_addc_co_u32_e32 v3, vcc, v3, v1, vcc
	s_mov_b32 s33, s12
	s_mov_b32 s44, s12
	;; [unrolled: 1-line block ×17, first 2 shown]
	s_sub_i32 s64, 0, s14
	s_movk_i32 s65, 0x7fff
	v_mov_b32_e32 v10, 0x4f800000
	v_mov_b32_e32 v5, s7
	;; [unrolled: 1-line block ×3, first 2 shown]
	s_mov_b64 s[26:27], s[10:11]
	s_branch .LBB53_4
.LBB53_3:                               ;   in Loop: Header=BB53_4 Depth=1
	s_waitcnt lgkmcnt(0)
	s_add_u32 s26, s26, s15
	s_addc_u32 s27, s27, 0
	v_cmp_ge_i64_e32 vcc, s[26:27], v[6:7]
	s_cbranch_vccnz .LBB53_16
.LBB53_4:                               ; =>This Loop Header: Depth=1
                                        ;     Child Loop BB53_10 Depth 2
                                        ;     Child Loop BB53_14 Depth 2
	s_andn2_b64 vcc, exec, s[0:1]
	s_cbranch_vccnz .LBB53_3
; %bb.5:                                ;   in Loop: Header=BB53_4 Depth=1
	s_load_dword s10, s[28:29], 0x8
	v_mov_b32_e32 v9, s7
	v_mov_b32_e32 v8, s6
	s_waitcnt lgkmcnt(0)
	s_add_u32 s34, s8, s10
	s_addc_u32 s35, 0, 0
	v_mov_b32_e32 v11, s34
	v_mov_b32_e32 v12, s35
	v_cmp_lt_i64_e64 s[2:3], s[34:35], v[8:9]
	v_cmp_gt_i64_e32 vcc, s[6:7], v[11:12]
	v_cndmask_b32_e64 v8, 0, 1, s[2:3]
	s_and_b64 s[36:37], vcc, exec
	v_readfirstlane_b32 s38, v8
	s_cselect_b32 s37, s6, s34
	s_cselect_b32 s36, s7, s35
	s_sub_u32 s37, s37, s38
	s_subb_u32 s36, s36, 0
	s_sub_u32 s38, s37, s34
	s_subb_u32 s35, s36, s35
	s_mov_b32 s34, s11
	s_cmp_lg_u64 s[34:35], 0
	s_cbranch_scc0 .LBB53_15
; %bb.6:                                ;   in Loop: Header=BB53_4 Depth=1
	v_cvt_f32_u32_e32 v8, s10
	s_sub_u32 s34, 0, s10
	s_subb_u32 s39, 0, 0
	v_mac_f32_e32 v8, 0, v10
	v_rcp_f32_e32 v8, v8
	v_mul_f32_e32 v8, 0x5f7ffffc, v8
	v_mul_f32_e32 v9, 0x2f800000, v8
	v_trunc_f32_e32 v9, v9
	v_mac_f32_e32 v8, 0xcf800000, v9
	v_cvt_u32_f32_e32 v9, v9
	v_cvt_u32_f32_e32 v8, v8
	v_readfirstlane_b32 s40, v9
	v_readfirstlane_b32 s36, v8
	s_mul_i32 s37, s34, s40
	s_mul_hi_u32 s42, s34, s36
	s_mul_i32 s41, s39, s36
	s_add_i32 s37, s42, s37
	s_mul_i32 s43, s34, s36
	s_add_i32 s37, s37, s41
	s_mul_hi_u32 s42, s36, s43
	s_mul_i32 s66, s36, s37
	s_mul_hi_u32 s41, s36, s37
	s_add_u32 s42, s42, s66
	s_addc_u32 s41, 0, s41
	s_mul_hi_u32 s67, s40, s43
	s_mul_i32 s43, s40, s43
	s_add_u32 s42, s42, s43
	s_mul_hi_u32 s66, s40, s37
	s_addc_u32 s41, s41, s67
	s_addc_u32 s42, s66, 0
	s_mul_i32 s37, s40, s37
	s_add_u32 s37, s41, s37
	s_addc_u32 s41, 0, s42
	s_add_u32 s42, s36, s37
	s_cselect_b64 s[36:37], -1, 0
	s_cmp_lg_u64 s[36:37], 0
	s_addc_u32 s40, s40, s41
	s_mul_i32 s36, s34, s40
	s_mul_hi_u32 s37, s34, s42
	s_add_i32 s36, s37, s36
	s_mul_i32 s39, s39, s42
	s_add_i32 s36, s36, s39
	s_mul_i32 s34, s34, s42
	s_mul_hi_u32 s39, s40, s34
	s_mul_i32 s41, s40, s34
	s_mul_i32 s66, s42, s36
	s_mul_hi_u32 s34, s42, s34
	s_mul_hi_u32 s43, s42, s36
	s_add_u32 s34, s34, s66
	s_addc_u32 s43, 0, s43
	s_add_u32 s34, s34, s41
	s_mul_hi_u32 s37, s40, s36
	s_addc_u32 s34, s43, s39
	s_addc_u32 s37, s37, 0
	s_mul_i32 s36, s40, s36
	s_add_u32 s34, s34, s36
	s_addc_u32 s39, 0, s37
	s_add_u32 s34, s42, s34
	s_cselect_b64 s[36:37], -1, 0
	s_cmp_lg_u64 s[36:37], 0
	s_addc_u32 s36, s40, s39
	s_mul_i32 s39, s38, s36
	s_mul_hi_u32 s40, s38, s34
	s_mul_hi_u32 s37, s38, s36
	s_add_u32 s39, s40, s39
	s_addc_u32 s37, 0, s37
	s_mul_hi_u32 s41, s35, s34
	s_mul_i32 s34, s35, s34
	s_add_u32 s34, s39, s34
	s_mul_hi_u32 s40, s35, s36
	s_addc_u32 s34, s37, s41
	s_addc_u32 s37, s40, 0
	s_mul_i32 s36, s35, s36
	s_add_u32 s39, s34, s36
	s_addc_u32 s40, 0, s37
	s_add_u32 s41, s39, 1
	s_addc_u32 s42, s40, 0
	s_add_u32 s43, s39, 2
	s_mul_i32 s34, s10, s40
	s_mul_hi_u32 s36, s10, s39
	s_addc_u32 s66, s40, 0
	s_add_i32 s34, s36, s34
	s_mul_i32 s36, s10, s39
	s_sub_u32 s67, s38, s36
	s_cselect_b64 s[36:37], -1, 0
	s_cmp_lg_u64 s[36:37], 0
	s_subb_u32 s36, s35, s34
	s_sub_u32 s37, s67, s10
	s_cselect_b64 s[34:35], -1, 0
	s_cmp_lg_u64 s[34:35], 0
	s_subb_u32 s34, s36, 0
	s_cmp_ge_u32 s37, s10
	s_cselect_b32 s35, -1, 0
	s_cmp_eq_u32 s34, 0
	s_cselect_b32 s34, s35, -1
	s_cmp_lg_u32 s34, 0
	s_cselect_b32 s34, s43, s41
	s_cselect_b32 s35, s66, s42
	s_cmp_ge_u32 s67, s10
	s_cselect_b32 s37, -1, 0
	s_cmp_eq_u32 s36, 0
	s_cselect_b32 s36, s37, -1
	s_cmp_lg_u32 s36, 0
	s_cselect_b32 s37, s35, s40
	s_cselect_b32 s36, s34, s39
	s_cbranch_execnz .LBB53_8
.LBB53_7:                               ;   in Loop: Header=BB53_4 Depth=1
	v_cvt_f32_u32_e32 v8, s10
	s_sub_i32 s34, 0, s10
	v_rcp_iflag_f32_e32 v8, v8
	v_mul_f32_e32 v8, 0x4f7ffffe, v8
	v_cvt_u32_f32_e32 v8, v8
	v_readfirstlane_b32 s35, v8
	s_mul_i32 s34, s34, s35
	s_mul_hi_u32 s34, s35, s34
	s_add_i32 s35, s35, s34
	s_mul_hi_u32 s34, s38, s35
	s_mul_i32 s36, s34, s10
	s_sub_i32 s36, s38, s36
	s_add_i32 s35, s34, 1
	s_sub_i32 s37, s36, s10
	s_cmp_ge_u32 s36, s10
	s_cselect_b32 s34, s35, s34
	s_cselect_b32 s36, s37, s36
	s_add_i32 s35, s34, 1
	s_cmp_ge_u32 s36, s10
	s_cselect_b32 s36, s35, s34
	s_mov_b32 s37, s11
.LBB53_8:                               ;   in Loop: Header=BB53_4 Depth=1
	s_mul_i32 s34, s26, s17
	s_mul_hi_u32 s35, s26, s16
	s_add_i32 s34, s35, s34
	s_mul_i32 s35, s27, s16
	s_add_i32 s35, s34, s35
	s_and_b64 s[2:3], s[2:3], exec
	s_cselect_b32 s2, 2, 1
	s_add_u32 s36, s2, s36
	s_addc_u32 s37, 0, s37
	v_cmp_lt_u64_e64 s[38:39], s[36:37], 2
	s_mul_i32 s34, s26, s16
	s_mov_b64 s[2:3], -1
	s_and_b64 vcc, exec, s[38:39]
	s_mov_b64 s[40:41], s[8:9]
	s_cbranch_vccnz .LBB53_12
; %bb.9:                                ;   in Loop: Header=BB53_4 Depth=1
	s_and_b32 s38, s36, -2
	s_add_u32 s68, s8, s10
	s_mov_b32 s39, s37
	s_addc_u32 s69, 0, 0
	s_lshl_b64 s[40:41], s[10:11], 1
	s_mov_b32 s66, s26
	s_mov_b32 s67, s27
	;; [unrolled: 1-line block ×6, first 2 shown]
	s_mov_b64 s[42:43], s[38:39]
.LBB53_10:                              ;   Parent Loop BB53_4 Depth=1
                                        ; =>  This Inner Loop Header: Depth=2
	s_mul_i32 s2, s68, s57
	s_mul_hi_u32 s3, s68, s56
	s_mul_i32 s74, s70, s55
	s_mul_hi_u32 s75, s70, s54
	s_mul_hi_u32 s78, s70, s33
	s_mul_i32 s77, s71, s54
	s_mul_hi_u32 s79, s68, s44
	s_add_i32 s2, s3, s2
	s_add_i32 s3, s75, s74
	;; [unrolled: 1-line block ×3, first 2 shown]
	s_mul_i32 s76, s69, s56
	s_add_i32 s79, s79, s68
	s_add_i32 s81, s3, s77
	s_lshr_b32 s3, s78, s45
	s_add_i32 s80, s2, s76
	s_lshr_b32 s75, s79, s46
	s_mul_i32 s74, s31, s3
	s_mul_hi_u32 s76, s30, s3
	s_mul_i32 s77, s3, s14
	s_mul_i32 s2, s30, s3
	;; [unrolled: 1-line block ×3, first 2 shown]
	s_mul_hi_u32 s79, s48, s75
	s_add_i32 s3, s76, s74
	s_mul_i32 s76, s75, s47
	s_sub_i32 s82, s70, s77
	s_mul_i32 s74, s48, s75
	s_add_i32 s75, s79, s78
	s_sub_i32 s78, s68, s76
	s_mul_i32 s76, s51, s82
	s_mul_hi_u32 s77, s50, s82
	s_add_i32 s77, s77, s76
	s_mul_i32 s76, s50, s82
	s_mul_i32 s79, s53, s78
	s_mul_hi_u32 s82, s52, s78
	s_add_i32 s79, s82, s79
	s_mul_i32 s82, s70, s54
	s_add_u32 s82, s82, s26
	s_addc_u32 s81, s81, s27
	s_mul_i32 s83, s68, s56
	s_add_u32 s84, s83, s66
	s_mul_i32 s83, s82, s59
	s_mul_hi_u32 s85, s82, s58
	s_addc_u32 s80, s80, s67
	s_add_i32 s83, s85, s83
	s_mul_i32 s85, s84, s61
	s_mul_hi_u32 s86, s84, s60
	s_add_i32 s85, s86, s85
	s_mul_i32 s81, s81, s58
	s_mul_i32 s80, s80, s60
	s_lshl_b64 s[2:3], s[2:3], 1
	s_add_i32 s81, s83, s81
	s_add_i32 s83, s85, s80
	s_add_u32 s80, s24, s2
	s_addc_u32 s85, s25, s3
	s_lshl_b64 s[2:3], s[74:75], 1
	s_add_u32 s74, s24, s2
	s_addc_u32 s75, s25, s3
	s_lshl_b64 s[2:3], s[76:77], 1
	s_add_u32 s76, s80, s2
	s_mul_i32 s78, s52, s78
	s_addc_u32 s77, s85, s3
	s_lshl_b64 s[2:3], s[78:79], 1
	s_add_u32 s74, s74, s2
	s_addc_u32 s75, s75, s3
	s_lshl_b64 s[2:3], s[34:35], 1
	s_add_u32 s76, s76, s2
	s_addc_u32 s77, s77, s3
	s_add_u32 s2, s74, s2
	v_mov_b32_e32 v9, s77
	v_add_co_u32_e32 v8, vcc, s76, v0
	s_addc_u32 s3, s75, s3
	v_addc_co_u32_e32 v9, vcc, v9, v1, vcc
	v_mov_b32_e32 v11, s3
	global_load_ushort v13, v[8:9], off
	v_add_co_u32_e32 v8, vcc, s2, v0
	v_addc_co_u32_e32 v9, vcc, v11, v1, vcc
	global_load_ushort v14, v[8:9], off
	s_mul_i32 s80, s82, s58
	s_mul_i32 s82, s84, s60
	s_lshl_b64 s[2:3], s[80:81], 1
	s_lshl_b64 s[74:75], s[82:83], 1
	s_add_u32 s68, s68, s72
	s_addc_u32 s69, s69, s73
	v_mov_b32_e32 v9, s3
	v_mov_b32_e32 v15, s75
	v_add_co_u32_e32 v8, vcc, s74, v2
	v_add_co_u32_e64 v11, s[2:3], s2, v2
	s_add_u32 s70, s70, s40
	v_addc_co_u32_e64 v12, s[2:3], v3, v9, s[2:3]
	v_addc_co_u32_e32 v9, vcc, v3, v15, vcc
	s_addc_u32 s71, s71, s41
	s_add_u32 s42, s42, -2
	s_addc_u32 s43, s43, -1
	s_cmp_lg_u64 s[42:43], 0
	s_waitcnt vmcnt(1)
	v_cvt_f32_f16_e32 v13, v13
	v_bfe_u32 v15, v13, 16, 1
	s_waitcnt vmcnt(0)
	v_cvt_f32_f16_e32 v14, v14
	v_or_b32_e32 v16, 0x400000, v13
	v_add3_u32 v15, v15, v13, s65
	v_cmp_u_f32_e32 vcc, v13, v13
	v_bfe_u32 v13, v14, 16, 1
	v_or_b32_e32 v17, 0x400000, v14
	v_cndmask_b32_e32 v15, v15, v16, vcc
	v_add3_u32 v13, v13, v14, s65
	v_cmp_u_f32_e32 vcc, v14, v14
	global_store_short_d16_hi v[11:12], v15, off
	v_cndmask_b32_e32 v11, v13, v17, vcc
	global_store_short_d16_hi v[8:9], v11, off
	s_cbranch_scc1 .LBB53_10
; %bb.11:                               ;   in Loop: Header=BB53_4 Depth=1
	s_mul_i32 s2, s39, s10
	s_mul_hi_u32 s3, s38, s10
	s_add_i32 s3, s3, s2
	s_mul_i32 s2, s38, s10
	s_add_u32 s40, s2, s8
	s_addc_u32 s41, s3, 0
	s_cmp_lg_u64 s[36:37], s[38:39]
	s_cselect_b64 s[2:3], -1, 0
.LBB53_12:                              ;   in Loop: Header=BB53_4 Depth=1
	s_and_b64 vcc, exec, s[2:3]
	s_cbranch_vccz .LBB53_3
; %bb.13:                               ;   in Loop: Header=BB53_4 Depth=1
	s_mul_i32 s2, s22, s41
	s_mul_hi_u32 s3, s22, s40
	s_add_i32 s2, s3, s2
	s_mul_i32 s3, s23, s40
	s_add_i32 s2, s2, s3
	s_mul_i32 s3, s22, s40
	s_add_u32 s36, s26, s3
	v_mov_b32_e32 v8, s36
	s_addc_u32 s37, s27, s2
	v_mad_u64_u32 v[8:9], s[2:3], s4, v8, v[2:3]
	s_mul_i32 s2, s5, s36
	s_mul_i32 s3, s4, s37
	s_add_i32 s3, s3, s2
	v_add_u32_e32 v9, s3, v9
	s_mul_i32 s2, s21, s10
	s_mul_hi_u32 s3, s20, s10
	s_add_i32 s2, s3, s2
	s_mul_i32 s36, s20, s10
	v_mov_b32_e32 v11, s2
.LBB53_14:                              ;   Parent Loop BB53_4 Depth=1
                                        ; =>  This Inner Loop Header: Depth=2
	s_mul_hi_u32 s2, s12, s40
	s_add_i32 s2, s40, s2
	s_lshr_b32 s2, s2, s13
	s_mul_i32 s3, s64, s2
	s_mul_i32 s37, s31, s2
	s_mul_hi_u32 s38, s30, s2
	s_add_i32 s39, s40, s3
	s_mul_i32 s2, s30, s2
	s_add_i32 s3, s38, s37
	s_mul_i32 s37, s19, s39
	s_mul_hi_u32 s42, s18, s39
	s_mul_i32 s38, s18, s39
	s_lshl_b64 s[2:3], s[2:3], 1
	s_add_i32 s39, s42, s37
	s_add_u32 s37, s24, s2
	s_addc_u32 s42, s25, s3
	s_lshl_b64 s[2:3], s[38:39], 1
	s_add_u32 s37, s37, s2
	s_addc_u32 s38, s42, s3
	s_lshl_b64 s[2:3], s[34:35], 1
	s_add_u32 s2, s37, s2
	s_addc_u32 s3, s38, s3
	v_mov_b32_e32 v13, s3
	v_add_co_u32_e32 v12, vcc, s2, v0
	v_addc_co_u32_e32 v13, vcc, v13, v1, vcc
	global_load_ushort v12, v[12:13], off
	s_add_u32 s40, s40, s10
	s_addc_u32 s41, s41, 0
	v_cmp_ge_i64_e32 vcc, s[40:41], v[4:5]
	s_and_b64 vcc, exec, vcc
	s_waitcnt vmcnt(0)
	v_cvt_f32_f16_e32 v12, v12
	v_bfe_u32 v13, v12, 16, 1
	v_or_b32_e32 v14, 0x400000, v12
	v_add3_u32 v13, v13, v12, s65
	v_cmp_u_f32_e64 s[2:3], v12, v12
	v_cndmask_b32_e64 v12, v13, v14, s[2:3]
	global_store_short_d16_hi v[8:9], v12, off
	v_add_co_u32_e64 v8, s[2:3], s36, v8
	v_addc_co_u32_e64 v9, s[2:3], v9, v11, s[2:3]
	s_cbranch_vccz .LBB53_14
	s_branch .LBB53_3
.LBB53_15:                              ;   in Loop: Header=BB53_4 Depth=1
                                        ; implicit-def: $sgpr36_sgpr37
	s_branch .LBB53_7
.LBB53_16:
	s_endpgm
	.section	.rodata,"a",@progbits
	.p2align	6, 0x0
	.amdhsa_kernel _ZL13convert_unaryI6__half14__hip_bfloat16EvPKvPT0_lll15HIP_vector_typeIjLj3EElll
		.amdhsa_group_segment_fixed_size 0
		.amdhsa_private_segment_fixed_size 0
		.amdhsa_kernarg_size 336
		.amdhsa_user_sgpr_count 6
		.amdhsa_user_sgpr_private_segment_buffer 1
		.amdhsa_user_sgpr_dispatch_ptr 0
		.amdhsa_user_sgpr_queue_ptr 0
		.amdhsa_user_sgpr_kernarg_segment_ptr 1
		.amdhsa_user_sgpr_dispatch_id 0
		.amdhsa_user_sgpr_flat_scratch_init 0
		.amdhsa_user_sgpr_private_segment_size 0
		.amdhsa_uses_dynamic_stack 0
		.amdhsa_system_sgpr_private_segment_wavefront_offset 0
		.amdhsa_system_sgpr_workgroup_id_x 1
		.amdhsa_system_sgpr_workgroup_id_y 1
		.amdhsa_system_sgpr_workgroup_id_z 1
		.amdhsa_system_sgpr_workgroup_info 0
		.amdhsa_system_vgpr_workitem_id 0
		.amdhsa_next_free_vgpr 18
		.amdhsa_next_free_sgpr 87
		.amdhsa_reserve_vcc 1
		.amdhsa_reserve_flat_scratch 0
		.amdhsa_float_round_mode_32 0
		.amdhsa_float_round_mode_16_64 0
		.amdhsa_float_denorm_mode_32 3
		.amdhsa_float_denorm_mode_16_64 3
		.amdhsa_dx10_clamp 1
		.amdhsa_ieee_mode 1
		.amdhsa_fp16_overflow 0
		.amdhsa_exception_fp_ieee_invalid_op 0
		.amdhsa_exception_fp_denorm_src 0
		.amdhsa_exception_fp_ieee_div_zero 0
		.amdhsa_exception_fp_ieee_overflow 0
		.amdhsa_exception_fp_ieee_underflow 0
		.amdhsa_exception_fp_ieee_inexact 0
		.amdhsa_exception_int_div_zero 0
	.end_amdhsa_kernel
	.section	.text._ZL13convert_unaryI6__half14__hip_bfloat16EvPKvPT0_lll15HIP_vector_typeIjLj3EElll,"axG",@progbits,_ZL13convert_unaryI6__half14__hip_bfloat16EvPKvPT0_lll15HIP_vector_typeIjLj3EElll,comdat
.Lfunc_end53:
	.size	_ZL13convert_unaryI6__half14__hip_bfloat16EvPKvPT0_lll15HIP_vector_typeIjLj3EElll, .Lfunc_end53-_ZL13convert_unaryI6__half14__hip_bfloat16EvPKvPT0_lll15HIP_vector_typeIjLj3EElll
                                        ; -- End function
	.set _ZL13convert_unaryI6__half14__hip_bfloat16EvPKvPT0_lll15HIP_vector_typeIjLj3EElll.num_vgpr, 18
	.set _ZL13convert_unaryI6__half14__hip_bfloat16EvPKvPT0_lll15HIP_vector_typeIjLj3EElll.num_agpr, 0
	.set _ZL13convert_unaryI6__half14__hip_bfloat16EvPKvPT0_lll15HIP_vector_typeIjLj3EElll.numbered_sgpr, 87
	.set _ZL13convert_unaryI6__half14__hip_bfloat16EvPKvPT0_lll15HIP_vector_typeIjLj3EElll.num_named_barrier, 0
	.set _ZL13convert_unaryI6__half14__hip_bfloat16EvPKvPT0_lll15HIP_vector_typeIjLj3EElll.private_seg_size, 0
	.set _ZL13convert_unaryI6__half14__hip_bfloat16EvPKvPT0_lll15HIP_vector_typeIjLj3EElll.uses_vcc, 1
	.set _ZL13convert_unaryI6__half14__hip_bfloat16EvPKvPT0_lll15HIP_vector_typeIjLj3EElll.uses_flat_scratch, 0
	.set _ZL13convert_unaryI6__half14__hip_bfloat16EvPKvPT0_lll15HIP_vector_typeIjLj3EElll.has_dyn_sized_stack, 0
	.set _ZL13convert_unaryI6__half14__hip_bfloat16EvPKvPT0_lll15HIP_vector_typeIjLj3EElll.has_recursion, 0
	.set _ZL13convert_unaryI6__half14__hip_bfloat16EvPKvPT0_lll15HIP_vector_typeIjLj3EElll.has_indirect_call, 0
	.section	.AMDGPU.csdata,"",@progbits
; Kernel info:
; codeLenInByte = 1920
; TotalNumSgprs: 91
; NumVgprs: 18
; ScratchSize: 0
; MemoryBound: 0
; FloatMode: 240
; IeeeMode: 1
; LDSByteSize: 0 bytes/workgroup (compile time only)
; SGPRBlocks: 11
; VGPRBlocks: 4
; NumSGPRsForWavesPerEU: 91
; NumVGPRsForWavesPerEU: 18
; Occupancy: 8
; WaveLimiterHint : 0
; COMPUTE_PGM_RSRC2:SCRATCH_EN: 0
; COMPUTE_PGM_RSRC2:USER_SGPR: 6
; COMPUTE_PGM_RSRC2:TRAP_HANDLER: 0
; COMPUTE_PGM_RSRC2:TGID_X_EN: 1
; COMPUTE_PGM_RSRC2:TGID_Y_EN: 1
; COMPUTE_PGM_RSRC2:TGID_Z_EN: 1
; COMPUTE_PGM_RSRC2:TIDIG_COMP_CNT: 0
	.section	.text._ZL13convert_unaryI6__halffEvPKvPT0_lll15HIP_vector_typeIjLj3EElll,"axG",@progbits,_ZL13convert_unaryI6__halffEvPKvPT0_lll15HIP_vector_typeIjLj3EElll,comdat
	.globl	_ZL13convert_unaryI6__halffEvPKvPT0_lll15HIP_vector_typeIjLj3EElll ; -- Begin function _ZL13convert_unaryI6__halffEvPKvPT0_lll15HIP_vector_typeIjLj3EElll
	.p2align	8
	.type	_ZL13convert_unaryI6__halffEvPKvPT0_lll15HIP_vector_typeIjLj3EElll,@function
_ZL13convert_unaryI6__halffEvPKvPT0_lll15HIP_vector_typeIjLj3EElll: ; @_ZL13convert_unaryI6__halffEvPKvPT0_lll15HIP_vector_typeIjLj3EElll
; %bb.0:
	s_mov_b32 s10, s7
	s_load_dword s7, s[4:5], 0x5c
	s_load_dwordx4 s[0:3], s[4:5], 0x10
	s_add_u32 s24, s4, 0x50
	s_addc_u32 s25, s5, 0
	v_mov_b32_e32 v1, 0
	s_waitcnt lgkmcnt(0)
	s_and_b32 s7, s7, 0xffff
	v_mov_b32_e32 v2, s6
	v_mad_u64_u32 v[2:3], s[6:7], s7, v2, v[0:1]
	v_cmp_gt_i64_e32 vcc, s[0:1], v[2:3]
	s_and_saveexec_b64 s[6:7], vcc
	s_cbranch_execz .LBB54_7
; %bb.1:
	s_load_dwordx2 s[26:27], s[4:5], 0x20
	s_mov_b32 s11, 0
	v_mov_b32_e32 v0, s10
	v_mov_b32_e32 v1, s11
	v_cmp_le_i64_e32 vcc, s[2:3], v[0:1]
	s_cbranch_vccnz .LBB54_7
; %bb.2:
	s_load_dwordx4 s[20:23], s[4:5], 0x0
	s_load_dwordx8 s[12:19], s[4:5], 0x28
	s_load_dwordx2 s[6:7], s[4:5], 0x48
	s_mul_i32 s4, s3, s8
	s_mul_hi_u32 s5, s2, s8
	s_add_i32 s5, s5, s4
	s_mul_i32 s4, s2, s8
	s_add_u32 s4, s4, s10
	s_addc_u32 s5, s5, 0
	s_mul_i32 s5, s0, s5
	s_waitcnt lgkmcnt(0)
	s_mul_hi_u32 s15, s0, s4
	s_add_i32 s5, s15, s5
	s_mul_i32 s15, s1, s4
	s_add_i32 s5, s5, s15
	s_mul_i32 s4, s0, s4
	s_load_dword s28, s[24:25], 0x4
	s_lshl_b64 s[4:5], s[4:5], 2
	v_lshlrev_b64 v[0:1], 2, v[2:3]
	s_add_u32 s4, s22, s4
	s_addc_u32 s5, s23, s5
	s_mov_b32 s9, s11
	v_mov_b32_e32 v4, s8
	v_mov_b32_e32 v6, s5
	v_add_co_u32_e32 v0, vcc, s4, v0
	v_mov_b32_e32 v5, s9
	v_addc_co_u32_e32 v1, vcc, v6, v1, vcc
	s_waitcnt lgkmcnt(0)
	s_mul_i32 s4, s1, s28
	s_mul_i32 s1, s2, s1
	s_mul_hi_u32 s15, s2, s0
	v_cmp_gt_i64_e32 vcc, s[26:27], v[4:5]
	s_mul_hi_u32 s5, s0, s28
	s_add_i32 s1, s15, s1
	s_mul_i32 s15, s3, s0
	s_add_i32 s5, s5, s4
	s_mul_i32 s4, s0, s28
	;; [unrolled: 2-line block ×3, first 2 shown]
	v_cndmask_b32_e64 v4, 0, 1, vcc
	s_lshl_b64 s[4:5], s[4:5], 2
	s_lshl_b64 s[22:23], s[0:1], 2
	v_cmp_ne_u32_e64 s[0:1], 1, v4
	v_lshlrev_b64 v[2:3], 1, v[2:3]
	v_mov_b32_e32 v5, s3
	v_mov_b32_e32 v6, s26
	s_sub_i32 s29, 0, s14
	v_mov_b32_e32 v10, s5
	v_mov_b32_e32 v4, s2
	;; [unrolled: 1-line block ×3, first 2 shown]
	s_branch .LBB54_4
.LBB54_3:                               ;   in Loop: Header=BB54_4 Depth=1
	s_add_u32 s10, s10, s28
	s_addc_u32 s11, s11, 0
	v_cmp_ge_i64_e32 vcc, s[10:11], v[4:5]
	v_add_co_u32_e64 v0, s[2:3], s4, v0
	v_addc_co_u32_e64 v1, s[2:3], v1, v10, s[2:3]
	s_cbranch_vccnz .LBB54_7
.LBB54_4:                               ; =>This Loop Header: Depth=1
                                        ;     Child Loop BB54_6 Depth 2
	s_and_b64 vcc, exec, s[0:1]
	s_cbranch_vccnz .LBB54_3
; %bb.5:                                ;   in Loop: Header=BB54_4 Depth=1
	s_load_dword s5, s[24:25], 0x8
	s_mul_i32 s2, s10, s17
	s_mul_hi_u32 s3, s10, s16
	s_add_i32 s2, s3, s2
	s_mul_i32 s3, s11, s16
	s_waitcnt lgkmcnt(0)
	s_mul_i32 s14, s23, s5
	s_mul_hi_u32 s15, s22, s5
	s_add_i32 s3, s2, s3
	s_mul_i32 s2, s10, s16
	s_add_i32 s26, s15, s14
	v_mov_b32_e32 v9, v1
	s_mul_i32 s30, s22, s5
	s_lshl_b64 s[14:15], s[2:3], 1
	v_mov_b32_e32 v11, s26
	v_mov_b32_e32 v8, v0
	s_mov_b64 s[26:27], s[8:9]
.LBB54_6:                               ;   Parent Loop BB54_4 Depth=1
                                        ; =>  This Inner Loop Header: Depth=2
	s_mul_hi_u32 s2, s12, s26
	s_add_i32 s2, s26, s2
	s_lshr_b32 s2, s2, s13
	s_mul_i32 s3, s29, s2
	s_mul_i32 s31, s7, s2
	s_mul_hi_u32 s33, s6, s2
	s_add_i32 s34, s26, s3
	s_mul_i32 s2, s6, s2
	s_add_i32 s3, s33, s31
	s_mul_i32 s31, s19, s34
	s_mul_hi_u32 s33, s18, s34
	s_lshl_b64 s[2:3], s[2:3], 1
	s_add_i32 s35, s33, s31
	s_mul_i32 s34, s18, s34
	s_add_u32 s31, s20, s2
	s_addc_u32 s33, s21, s3
	s_lshl_b64 s[2:3], s[34:35], 1
	s_add_u32 s2, s31, s2
	s_addc_u32 s3, s33, s3
	s_add_u32 s2, s2, s14
	s_addc_u32 s3, s3, s15
	v_mov_b32_e32 v13, s3
	v_add_co_u32_e32 v12, vcc, s2, v2
	v_addc_co_u32_e32 v13, vcc, v13, v3, vcc
	global_load_ushort v12, v[12:13], off
	s_add_u32 s26, s26, s5
	s_addc_u32 s27, s27, 0
	v_cmp_ge_i64_e32 vcc, s[26:27], v[6:7]
	s_and_b64 vcc, exec, vcc
	s_waitcnt vmcnt(0)
	v_cvt_f32_f16_e32 v12, v12
	global_store_dword v[8:9], v12, off
	v_add_co_u32_e64 v8, s[2:3], s30, v8
	v_addc_co_u32_e64 v9, s[2:3], v9, v11, s[2:3]
	s_cbranch_vccz .LBB54_6
	s_branch .LBB54_3
.LBB54_7:
	s_endpgm
	.section	.rodata,"a",@progbits
	.p2align	6, 0x0
	.amdhsa_kernel _ZL13convert_unaryI6__halffEvPKvPT0_lll15HIP_vector_typeIjLj3EElll
		.amdhsa_group_segment_fixed_size 0
		.amdhsa_private_segment_fixed_size 0
		.amdhsa_kernarg_size 336
		.amdhsa_user_sgpr_count 6
		.amdhsa_user_sgpr_private_segment_buffer 1
		.amdhsa_user_sgpr_dispatch_ptr 0
		.amdhsa_user_sgpr_queue_ptr 0
		.amdhsa_user_sgpr_kernarg_segment_ptr 1
		.amdhsa_user_sgpr_dispatch_id 0
		.amdhsa_user_sgpr_flat_scratch_init 0
		.amdhsa_user_sgpr_private_segment_size 0
		.amdhsa_uses_dynamic_stack 0
		.amdhsa_system_sgpr_private_segment_wavefront_offset 0
		.amdhsa_system_sgpr_workgroup_id_x 1
		.amdhsa_system_sgpr_workgroup_id_y 1
		.amdhsa_system_sgpr_workgroup_id_z 1
		.amdhsa_system_sgpr_workgroup_info 0
		.amdhsa_system_vgpr_workitem_id 0
		.amdhsa_next_free_vgpr 14
		.amdhsa_next_free_sgpr 36
		.amdhsa_reserve_vcc 1
		.amdhsa_reserve_flat_scratch 0
		.amdhsa_float_round_mode_32 0
		.amdhsa_float_round_mode_16_64 0
		.amdhsa_float_denorm_mode_32 3
		.amdhsa_float_denorm_mode_16_64 3
		.amdhsa_dx10_clamp 1
		.amdhsa_ieee_mode 1
		.amdhsa_fp16_overflow 0
		.amdhsa_exception_fp_ieee_invalid_op 0
		.amdhsa_exception_fp_denorm_src 0
		.amdhsa_exception_fp_ieee_div_zero 0
		.amdhsa_exception_fp_ieee_overflow 0
		.amdhsa_exception_fp_ieee_underflow 0
		.amdhsa_exception_fp_ieee_inexact 0
		.amdhsa_exception_int_div_zero 0
	.end_amdhsa_kernel
	.section	.text._ZL13convert_unaryI6__halffEvPKvPT0_lll15HIP_vector_typeIjLj3EElll,"axG",@progbits,_ZL13convert_unaryI6__halffEvPKvPT0_lll15HIP_vector_typeIjLj3EElll,comdat
.Lfunc_end54:
	.size	_ZL13convert_unaryI6__halffEvPKvPT0_lll15HIP_vector_typeIjLj3EElll, .Lfunc_end54-_ZL13convert_unaryI6__halffEvPKvPT0_lll15HIP_vector_typeIjLj3EElll
                                        ; -- End function
	.set _ZL13convert_unaryI6__halffEvPKvPT0_lll15HIP_vector_typeIjLj3EElll.num_vgpr, 14
	.set _ZL13convert_unaryI6__halffEvPKvPT0_lll15HIP_vector_typeIjLj3EElll.num_agpr, 0
	.set _ZL13convert_unaryI6__halffEvPKvPT0_lll15HIP_vector_typeIjLj3EElll.numbered_sgpr, 36
	.set _ZL13convert_unaryI6__halffEvPKvPT0_lll15HIP_vector_typeIjLj3EElll.num_named_barrier, 0
	.set _ZL13convert_unaryI6__halffEvPKvPT0_lll15HIP_vector_typeIjLj3EElll.private_seg_size, 0
	.set _ZL13convert_unaryI6__halffEvPKvPT0_lll15HIP_vector_typeIjLj3EElll.uses_vcc, 1
	.set _ZL13convert_unaryI6__halffEvPKvPT0_lll15HIP_vector_typeIjLj3EElll.uses_flat_scratch, 0
	.set _ZL13convert_unaryI6__halffEvPKvPT0_lll15HIP_vector_typeIjLj3EElll.has_dyn_sized_stack, 0
	.set _ZL13convert_unaryI6__halffEvPKvPT0_lll15HIP_vector_typeIjLj3EElll.has_recursion, 0
	.set _ZL13convert_unaryI6__halffEvPKvPT0_lll15HIP_vector_typeIjLj3EElll.has_indirect_call, 0
	.section	.AMDGPU.csdata,"",@progbits
; Kernel info:
; codeLenInByte = 612
; TotalNumSgprs: 40
; NumVgprs: 14
; ScratchSize: 0
; MemoryBound: 0
; FloatMode: 240
; IeeeMode: 1
; LDSByteSize: 0 bytes/workgroup (compile time only)
; SGPRBlocks: 4
; VGPRBlocks: 3
; NumSGPRsForWavesPerEU: 40
; NumVGPRsForWavesPerEU: 14
; Occupancy: 10
; WaveLimiterHint : 0
; COMPUTE_PGM_RSRC2:SCRATCH_EN: 0
; COMPUTE_PGM_RSRC2:USER_SGPR: 6
; COMPUTE_PGM_RSRC2:TRAP_HANDLER: 0
; COMPUTE_PGM_RSRC2:TGID_X_EN: 1
; COMPUTE_PGM_RSRC2:TGID_Y_EN: 1
; COMPUTE_PGM_RSRC2:TGID_Z_EN: 1
; COMPUTE_PGM_RSRC2:TIDIG_COMP_CNT: 0
	.section	.text._ZL16dequantize_blockILi128ELi1EXadL_ZL15dequantize_q1_0PKvliR15HIP_vector_typeIfLj2EEEEfEvS1_PT2_lllS2_IjLj3EElll,"axG",@progbits,_ZL16dequantize_blockILi128ELi1EXadL_ZL15dequantize_q1_0PKvliR15HIP_vector_typeIfLj2EEEEfEvS1_PT2_lllS2_IjLj3EElll,comdat
	.globl	_ZL16dequantize_blockILi128ELi1EXadL_ZL15dequantize_q1_0PKvliR15HIP_vector_typeIfLj2EEEEfEvS1_PT2_lllS2_IjLj3EElll ; -- Begin function _ZL16dequantize_blockILi128ELi1EXadL_ZL15dequantize_q1_0PKvliR15HIP_vector_typeIfLj2EEEEfEvS1_PT2_lllS2_IjLj3EElll
	.p2align	8
	.type	_ZL16dequantize_blockILi128ELi1EXadL_ZL15dequantize_q1_0PKvliR15HIP_vector_typeIfLj2EEEEfEvS1_PT2_lllS2_IjLj3EElll,@function
_ZL16dequantize_blockILi128ELi1EXadL_ZL15dequantize_q1_0PKvliR15HIP_vector_typeIfLj2EEEEfEvS1_PT2_lllS2_IjLj3EElll: ; @_ZL16dequantize_blockILi128ELi1EXadL_ZL15dequantize_q1_0PKvliR15HIP_vector_typeIfLj2EEEEfEvS1_PT2_lllS2_IjLj3EElll
; %bb.0:
	s_mov_b32 s10, s7
	s_load_dword s7, s[4:5], 0x5c
	s_add_u32 s24, s4, 0x50
	s_addc_u32 s25, s5, 0
	v_mov_b32_e32 v1, 0
	v_mov_b32_e32 v2, s6
	s_waitcnt lgkmcnt(0)
	s_and_b32 s0, s7, 0xffff
	v_mad_u64_u32 v[1:2], s[0:1], s0, v2, v[0:1]
	s_load_dwordx4 s[0:3], s[4:5], 0x10
	v_lshlrev_b64 v[3:4], 1, v[1:2]
	s_waitcnt lgkmcnt(0)
	v_cmp_gt_i64_e32 vcc, s[0:1], v[3:4]
	s_and_saveexec_b64 s[12:13], vcc
	s_cbranch_execz .LBB55_7
; %bb.1:
	s_load_dwordx2 s[26:27], s[4:5], 0x20
	s_mov_b32 s11, 0
	v_mov_b32_e32 v4, s10
	v_mov_b32_e32 v5, s11
	v_cmp_le_i64_e32 vcc, s[2:3], v[4:5]
	s_cbranch_vccnz .LBB55_7
; %bb.2:
	s_load_dwordx4 s[20:23], s[4:5], 0x0
	s_load_dwordx8 s[12:19], s[4:5], 0x28
	s_load_dwordx2 s[28:29], s[4:5], 0x48
	s_mul_i32 s4, s3, s8
	s_mul_hi_u32 s5, s2, s8
	s_add_i32 s5, s5, s4
	s_mul_i32 s4, s2, s8
	s_add_u32 s4, s4, s10
	s_addc_u32 s5, s5, 0
	v_lshrrev_b64 v[1:2], 6, v[1:2]
	s_mul_i32 s5, s0, s5
	s_waitcnt lgkmcnt(0)
	s_mul_hi_u32 s15, s0, s4
	s_add_i32 s5, s15, s5
	s_mul_i32 s15, s1, s4
	v_bfe_u32 v9, v3, 3, 4
	v_and_b32_e32 v10, 6, v3
	s_add_i32 s5, s5, s15
	s_mul_i32 s4, s0, s4
	v_lshlrev_b64 v[3:4], 9, v[1:2]
	s_mul_i32 s6, s6, s7
	s_lshl_b64 s[4:5], s[4:5], 2
	v_add_u16_e32 v0, s6, v0
	v_mov_b32_e32 v7, s5
	v_add_co_u32_e32 v3, vcc, s4, v3
	v_and_b32_e32 v0, 63, v0
	v_addc_co_u32_e32 v4, vcc, v7, v4, vcc
	v_lshlrev_b32_e32 v0, 3, v0
	v_add_co_u32_e32 v0, vcc, v3, v0
	s_load_dword s30, s[24:25], 0x4
	v_addc_co_u32_e32 v3, vcc, 0, v4, vcc
	v_mov_b32_e32 v4, s23
	v_add_co_u32_e32 v0, vcc, s22, v0
	v_addc_co_u32_e32 v4, vcc, v4, v3, vcc
	s_mov_b32 s9, s11
	v_mov_b32_e32 v5, s8
	v_add_co_u32_e32 v3, vcc, 4, v0
	v_mov_b32_e32 v6, s9
	v_addc_co_u32_e32 v4, vcc, 0, v4, vcc
	s_waitcnt lgkmcnt(0)
	s_mul_i32 s4, s1, s30
	s_mul_hi_u32 s5, s0, s30
	s_mul_i32 s1, s2, s1
	s_mul_hi_u32 s6, s2, s0
	v_cmp_gt_i64_e32 vcc, s[26:27], v[5:6]
	s_add_i32 s5, s5, s4
	s_mul_i32 s4, s0, s30
	s_add_i32 s1, s6, s1
	s_mul_i32 s6, s3, s0
	s_lshl_b64 s[4:5], s[4:5], 2
	s_add_i32 s1, s1, s6
	s_mul_i32 s0, s2, s0
	v_cndmask_b32_e64 v0, 0, 1, vcc
	v_mov_b32_e32 v6, s3
	v_or_b32_e32 v11, 1, v10
	s_lshl_b64 s[6:7], s[0:1], 2
	s_sub_i32 s22, 0, s14
	v_cmp_ne_u32_e64 s[0:1], 1, v0
	v_mov_b32_e32 v0, s5
	v_mov_b32_e32 v5, s2
	s_branch .LBB55_4
.LBB55_3:                               ;   in Loop: Header=BB55_4 Depth=1
	s_add_u32 s10, s10, s30
	s_addc_u32 s11, s11, 0
	v_cmp_ge_i64_e32 vcc, s[10:11], v[5:6]
	v_add_co_u32_e64 v3, s[2:3], s4, v3
	v_addc_co_u32_e64 v4, s[2:3], v4, v0, s[2:3]
	s_cbranch_vccnz .LBB55_7
.LBB55_4:                               ; =>This Loop Header: Depth=1
                                        ;     Child Loop BB55_6 Depth 2
	s_and_b64 vcc, exec, s[0:1]
	s_cbranch_vccnz .LBB55_3
; %bb.5:                                ;   in Loop: Header=BB55_4 Depth=1
	s_load_dword s5, s[24:25], 0x8
	s_mul_i32 s2, s10, s17
	s_mul_hi_u32 s3, s10, s16
	s_add_i32 s2, s3, s2
	s_mul_i32 s3, s11, s16
	s_add_i32 s2, s2, s3
	s_mul_i32 s3, s10, s16
	s_waitcnt lgkmcnt(0)
	s_mul_i32 s14, s7, s5
	s_mul_hi_u32 s15, s6, s5
	s_mul_i32 s2, s2, 18
	s_mul_hi_u32 s33, s3, 18
	v_mov_b32_e32 v8, v4
	s_add_i32 s23, s15, s14
	s_mul_i32 s31, s6, s5
	s_add_i32 s33, s33, s2
	s_mul_i32 s34, s3, 18
	v_mov_b32_e32 v7, v3
	s_mov_b64 s[14:15], s[8:9]
.LBB55_6:                               ;   Parent Loop BB55_4 Depth=1
                                        ; =>  This Inner Loop Header: Depth=2
	s_mul_hi_u32 s2, s12, s14
	s_add_i32 s2, s14, s2
	s_lshr_b32 s2, s2, s13
	s_mul_i32 s3, s22, s2
	s_mul_i32 s35, s29, s2
	s_mul_hi_u32 s36, s28, s2
	s_mul_i32 s2, s28, s2
	s_add_i32 s3, s14, s3
	s_add_i32 s35, s36, s35
	s_mul_hi_u32 s36, s2, 18
	s_mul_i32 s37, s19, s3
	s_mul_hi_u32 s38, s18, s3
	s_mul_i32 s35, s35, 18
	s_mul_i32 s2, s2, 18
	s_mul_i32 s3, s18, s3
	s_add_i32 s37, s38, s37
	s_add_i32 s36, s36, s35
	s_mul_hi_u32 s35, s3, 18
	s_add_u32 s2, s20, s2
	s_mul_i32 s37, s37, 18
	s_mul_i32 s3, s3, 18
	s_addc_u32 s36, s21, s36
	s_add_i32 s35, s35, s37
	s_add_u32 s2, s2, s3
	s_addc_u32 s3, s36, s35
	s_add_u32 s2, s2, s34
	s_addc_u32 s3, s3, s33
	v_mad_u64_u32 v[12:13], s[2:3], v1, 18, s[2:3]
	s_add_u32 s14, s14, s5
	s_addc_u32 s15, s15, 0
	v_mad_u64_u32 v[14:15], s[2:3], v2, 18, v[13:14]
	v_add_co_u32_e32 v15, vcc, v12, v9
	v_mov_b32_e32 v13, v14
	v_addc_co_u32_e32 v16, vcc, 0, v14, vcc
	global_load_ushort v14, v[12:13], off
	global_load_ubyte v17, v[15:16], off offset:2
	v_mov_b32_e32 v12, s26
	v_mov_b32_e32 v13, s27
	v_cmp_ge_i64_e32 vcc, s[14:15], v[12:13]
	v_mov_b32_e32 v15, s23
	s_and_b64 vcc, exec, vcc
	s_waitcnt vmcnt(1)
	v_cvt_f32_f16_e32 v13, v14
	s_waitcnt vmcnt(0)
	v_lshrrev_b32_e32 v12, v10, v17
	v_lshrrev_b32_e32 v14, v11, v17
	v_lshlrev_b32_e32 v12, 1, v12
	v_lshlrev_b32_e32 v14, 1, v14
	v_and_b32_e32 v12, 2, v12
	v_and_b32_e32 v14, 2, v14
	v_add_u32_e32 v12, -1, v12
	v_add_u32_e32 v14, -1, v14
	v_cvt_f32_i32_e32 v12, v12
	v_cvt_f32_i32_e32 v14, v14
	v_mul_f32_e32 v12, v13, v12
	v_mul_f32_e32 v13, v13, v14
	global_store_dwordx2 v[7:8], v[12:13], off offset:-4
	v_add_co_u32_e64 v7, s[2:3], s31, v7
	v_addc_co_u32_e64 v8, s[2:3], v8, v15, s[2:3]
	s_cbranch_vccz .LBB55_6
	s_branch .LBB55_3
.LBB55_7:
	s_endpgm
	.section	.rodata,"a",@progbits
	.p2align	6, 0x0
	.amdhsa_kernel _ZL16dequantize_blockILi128ELi1EXadL_ZL15dequantize_q1_0PKvliR15HIP_vector_typeIfLj2EEEEfEvS1_PT2_lllS2_IjLj3EElll
		.amdhsa_group_segment_fixed_size 0
		.amdhsa_private_segment_fixed_size 0
		.amdhsa_kernarg_size 336
		.amdhsa_user_sgpr_count 6
		.amdhsa_user_sgpr_private_segment_buffer 1
		.amdhsa_user_sgpr_dispatch_ptr 0
		.amdhsa_user_sgpr_queue_ptr 0
		.amdhsa_user_sgpr_kernarg_segment_ptr 1
		.amdhsa_user_sgpr_dispatch_id 0
		.amdhsa_user_sgpr_flat_scratch_init 0
		.amdhsa_user_sgpr_private_segment_size 0
		.amdhsa_uses_dynamic_stack 0
		.amdhsa_system_sgpr_private_segment_wavefront_offset 0
		.amdhsa_system_sgpr_workgroup_id_x 1
		.amdhsa_system_sgpr_workgroup_id_y 1
		.amdhsa_system_sgpr_workgroup_id_z 1
		.amdhsa_system_sgpr_workgroup_info 0
		.amdhsa_system_vgpr_workitem_id 0
		.amdhsa_next_free_vgpr 18
		.amdhsa_next_free_sgpr 39
		.amdhsa_reserve_vcc 1
		.amdhsa_reserve_flat_scratch 0
		.amdhsa_float_round_mode_32 0
		.amdhsa_float_round_mode_16_64 0
		.amdhsa_float_denorm_mode_32 3
		.amdhsa_float_denorm_mode_16_64 3
		.amdhsa_dx10_clamp 1
		.amdhsa_ieee_mode 1
		.amdhsa_fp16_overflow 0
		.amdhsa_exception_fp_ieee_invalid_op 0
		.amdhsa_exception_fp_denorm_src 0
		.amdhsa_exception_fp_ieee_div_zero 0
		.amdhsa_exception_fp_ieee_overflow 0
		.amdhsa_exception_fp_ieee_underflow 0
		.amdhsa_exception_fp_ieee_inexact 0
		.amdhsa_exception_int_div_zero 0
	.end_amdhsa_kernel
	.section	.text._ZL16dequantize_blockILi128ELi1EXadL_ZL15dequantize_q1_0PKvliR15HIP_vector_typeIfLj2EEEEfEvS1_PT2_lllS2_IjLj3EElll,"axG",@progbits,_ZL16dequantize_blockILi128ELi1EXadL_ZL15dequantize_q1_0PKvliR15HIP_vector_typeIfLj2EEEEfEvS1_PT2_lllS2_IjLj3EElll,comdat
.Lfunc_end55:
	.size	_ZL16dequantize_blockILi128ELi1EXadL_ZL15dequantize_q1_0PKvliR15HIP_vector_typeIfLj2EEEEfEvS1_PT2_lllS2_IjLj3EElll, .Lfunc_end55-_ZL16dequantize_blockILi128ELi1EXadL_ZL15dequantize_q1_0PKvliR15HIP_vector_typeIfLj2EEEEfEvS1_PT2_lllS2_IjLj3EElll
                                        ; -- End function
	.set _ZL16dequantize_blockILi128ELi1EXadL_ZL15dequantize_q1_0PKvliR15HIP_vector_typeIfLj2EEEEfEvS1_PT2_lllS2_IjLj3EElll.num_vgpr, 18
	.set _ZL16dequantize_blockILi128ELi1EXadL_ZL15dequantize_q1_0PKvliR15HIP_vector_typeIfLj2EEEEfEvS1_PT2_lllS2_IjLj3EElll.num_agpr, 0
	.set _ZL16dequantize_blockILi128ELi1EXadL_ZL15dequantize_q1_0PKvliR15HIP_vector_typeIfLj2EEEEfEvS1_PT2_lllS2_IjLj3EElll.numbered_sgpr, 39
	.set _ZL16dequantize_blockILi128ELi1EXadL_ZL15dequantize_q1_0PKvliR15HIP_vector_typeIfLj2EEEEfEvS1_PT2_lllS2_IjLj3EElll.num_named_barrier, 0
	.set _ZL16dequantize_blockILi128ELi1EXadL_ZL15dequantize_q1_0PKvliR15HIP_vector_typeIfLj2EEEEfEvS1_PT2_lllS2_IjLj3EElll.private_seg_size, 0
	.set _ZL16dequantize_blockILi128ELi1EXadL_ZL15dequantize_q1_0PKvliR15HIP_vector_typeIfLj2EEEEfEvS1_PT2_lllS2_IjLj3EElll.uses_vcc, 1
	.set _ZL16dequantize_blockILi128ELi1EXadL_ZL15dequantize_q1_0PKvliR15HIP_vector_typeIfLj2EEEEfEvS1_PT2_lllS2_IjLj3EElll.uses_flat_scratch, 0
	.set _ZL16dequantize_blockILi128ELi1EXadL_ZL15dequantize_q1_0PKvliR15HIP_vector_typeIfLj2EEEEfEvS1_PT2_lllS2_IjLj3EElll.has_dyn_sized_stack, 0
	.set _ZL16dequantize_blockILi128ELi1EXadL_ZL15dequantize_q1_0PKvliR15HIP_vector_typeIfLj2EEEEfEvS1_PT2_lllS2_IjLj3EElll.has_recursion, 0
	.set _ZL16dequantize_blockILi128ELi1EXadL_ZL15dequantize_q1_0PKvliR15HIP_vector_typeIfLj2EEEEfEvS1_PT2_lllS2_IjLj3EElll.has_indirect_call, 0
	.section	.AMDGPU.csdata,"",@progbits
; Kernel info:
; codeLenInByte = 788
; TotalNumSgprs: 43
; NumVgprs: 18
; ScratchSize: 0
; MemoryBound: 0
; FloatMode: 240
; IeeeMode: 1
; LDSByteSize: 0 bytes/workgroup (compile time only)
; SGPRBlocks: 5
; VGPRBlocks: 4
; NumSGPRsForWavesPerEU: 43
; NumVGPRsForWavesPerEU: 18
; Occupancy: 10
; WaveLimiterHint : 0
; COMPUTE_PGM_RSRC2:SCRATCH_EN: 0
; COMPUTE_PGM_RSRC2:USER_SGPR: 6
; COMPUTE_PGM_RSRC2:TRAP_HANDLER: 0
; COMPUTE_PGM_RSRC2:TGID_X_EN: 1
; COMPUTE_PGM_RSRC2:TGID_Y_EN: 1
; COMPUTE_PGM_RSRC2:TGID_Z_EN: 1
; COMPUTE_PGM_RSRC2:TIDIG_COMP_CNT: 0
	.section	.text._ZL16dequantize_blockILi32ELi2EXadL_ZL15dequantize_q4_0PKvliR15HIP_vector_typeIfLj2EEEEfEvS1_PT2_lllS2_IjLj3EElll,"axG",@progbits,_ZL16dequantize_blockILi32ELi2EXadL_ZL15dequantize_q4_0PKvliR15HIP_vector_typeIfLj2EEEEfEvS1_PT2_lllS2_IjLj3EElll,comdat
	.globl	_ZL16dequantize_blockILi32ELi2EXadL_ZL15dequantize_q4_0PKvliR15HIP_vector_typeIfLj2EEEEfEvS1_PT2_lllS2_IjLj3EElll ; -- Begin function _ZL16dequantize_blockILi32ELi2EXadL_ZL15dequantize_q4_0PKvliR15HIP_vector_typeIfLj2EEEEfEvS1_PT2_lllS2_IjLj3EElll
	.p2align	8
	.type	_ZL16dequantize_blockILi32ELi2EXadL_ZL15dequantize_q4_0PKvliR15HIP_vector_typeIfLj2EEEEfEvS1_PT2_lllS2_IjLj3EElll,@function
_ZL16dequantize_blockILi32ELi2EXadL_ZL15dequantize_q4_0PKvliR15HIP_vector_typeIfLj2EEEEfEvS1_PT2_lllS2_IjLj3EElll: ; @_ZL16dequantize_blockILi32ELi2EXadL_ZL15dequantize_q4_0PKvliR15HIP_vector_typeIfLj2EEEEfEvS1_PT2_lllS2_IjLj3EElll
; %bb.0:
	s_load_dword s0, s[4:5], 0x5c
	s_add_u32 s24, s4, 0x50
	s_addc_u32 s25, s5, 0
	v_mov_b32_e32 v1, 0
	v_mov_b32_e32 v2, s6
	s_waitcnt lgkmcnt(0)
	s_and_b32 s0, s0, 0xffff
	v_mad_u64_u32 v[2:3], s[0:1], s0, v2, v[0:1]
	s_load_dwordx4 s[0:3], s[4:5], 0x10
	s_mov_b32 s10, s7
	v_lshlrev_b64 v[0:1], 1, v[2:3]
	s_waitcnt lgkmcnt(0)
	v_cmp_gt_i64_e32 vcc, s[0:1], v[0:1]
	s_and_saveexec_b64 s[6:7], vcc
	s_cbranch_execz .LBB56_7
; %bb.1:
	s_load_dwordx2 s[6:7], s[4:5], 0x20
	s_mov_b32 s11, 0
	v_mov_b32_e32 v0, s10
	v_mov_b32_e32 v1, s11
	v_cmp_le_i64_e32 vcc, s[2:3], v[0:1]
	s_cbranch_vccnz .LBB56_7
; %bb.2:
	s_load_dwordx4 s[20:23], s[4:5], 0x0
	s_load_dwordx8 s[12:19], s[4:5], 0x28
	s_load_dwordx2 s[26:27], s[4:5], 0x48
	s_mul_i32 s4, s3, s8
	s_mul_hi_u32 s5, s2, s8
	s_add_i32 s5, s5, s4
	s_mul_i32 s4, s2, s8
	s_add_u32 s4, s4, s10
	s_addc_u32 s5, s5, 0
	v_lshrrev_b64 v[0:1], 4, v[2:3]
	s_mul_i32 s5, s0, s5
	s_waitcnt lgkmcnt(0)
	s_mul_hi_u32 s15, s0, s4
	s_add_i32 s5, s15, s5
	s_mul_i32 s15, s1, s4
	v_and_b32_e32 v8, 15, v2
	s_add_i32 s5, s5, s15
	s_mul_i32 s4, s0, s4
	v_lshlrev_b64 v[2:3], 7, v[0:1]
	s_lshl_b64 s[4:5], s[4:5], 2
	v_mov_b32_e32 v6, s5
	v_add_co_u32_e32 v2, vcc, s4, v2
	v_addc_co_u32_e32 v3, vcc, v6, v3, vcc
	v_lshlrev_b32_e32 v6, 2, v8
	v_add_co_u32_e32 v2, vcc, v2, v6
	s_load_dword s28, s[24:25], 0x4
	v_addc_co_u32_e32 v3, vcc, 0, v3, vcc
	v_mov_b32_e32 v6, s23
	v_add_co_u32_e32 v2, vcc, s22, v2
	v_addc_co_u32_e32 v3, vcc, v6, v3, vcc
	s_mov_b32 s9, s11
	v_mov_b32_e32 v4, s8
	v_add_co_u32_e32 v2, vcc, 64, v2
	v_mov_b32_e32 v5, s9
	v_addc_co_u32_e32 v3, vcc, 0, v3, vcc
	s_waitcnt lgkmcnt(0)
	s_mul_i32 s4, s1, s28
	s_mul_i32 s1, s2, s1
	s_mul_hi_u32 s15, s2, s0
	v_cmp_gt_i64_e32 vcc, s[6:7], v[4:5]
	s_mul_hi_u32 s5, s0, s28
	s_add_i32 s1, s15, s1
	s_mul_i32 s15, s3, s0
	s_add_i32 s5, s5, s4
	s_mul_i32 s4, s0, s28
	;; [unrolled: 2-line block ×3, first 2 shown]
	v_cndmask_b32_e64 v4, 0, 1, vcc
	s_lshl_b64 s[4:5], s[4:5], 2
	s_lshl_b64 s[22:23], s[0:1], 2
	v_cmp_ne_u32_e64 s[0:1], 1, v4
	v_mov_b32_e32 v5, s3
	s_sub_i32 s29, 0, s14
	v_mov_b32_e32 v9, s5
	v_mov_b32_e32 v4, s2
	s_branch .LBB56_4
.LBB56_3:                               ;   in Loop: Header=BB56_4 Depth=1
	s_add_u32 s10, s10, s28
	s_addc_u32 s11, s11, 0
	v_cmp_ge_i64_e32 vcc, s[10:11], v[4:5]
	v_add_co_u32_e64 v2, s[2:3], s4, v2
	v_addc_co_u32_e64 v3, s[2:3], v3, v9, s[2:3]
	s_cbranch_vccnz .LBB56_7
.LBB56_4:                               ; =>This Loop Header: Depth=1
                                        ;     Child Loop BB56_6 Depth 2
	s_and_b64 vcc, exec, s[0:1]
	s_cbranch_vccnz .LBB56_3
; %bb.5:                                ;   in Loop: Header=BB56_4 Depth=1
	s_load_dword s5, s[24:25], 0x8
	s_mul_i32 s2, s10, s17
	s_mul_hi_u32 s3, s10, s16
	s_add_i32 s2, s3, s2
	s_mul_i32 s3, s11, s16
	s_add_i32 s2, s2, s3
	s_mul_i32 s3, s10, s16
	s_waitcnt lgkmcnt(0)
	s_mul_i32 s14, s23, s5
	s_mul_hi_u32 s15, s22, s5
	s_mul_i32 s2, s2, 18
	s_mul_hi_u32 s33, s3, 18
	v_mov_b32_e32 v7, v3
	s_add_i32 s30, s15, s14
	s_mul_i32 s31, s22, s5
	s_add_i32 s33, s33, s2
	s_mul_i32 s34, s3, 18
	v_mov_b32_e32 v6, v2
	s_mov_b64 s[14:15], s[8:9]
.LBB56_6:                               ;   Parent Loop BB56_4 Depth=1
                                        ; =>  This Inner Loop Header: Depth=2
	s_mul_hi_u32 s2, s12, s14
	s_add_i32 s2, s14, s2
	s_lshr_b32 s2, s2, s13
	s_mul_i32 s3, s29, s2
	s_mul_i32 s35, s27, s2
	s_mul_hi_u32 s36, s26, s2
	s_mul_i32 s2, s26, s2
	s_add_i32 s3, s14, s3
	s_add_i32 s35, s36, s35
	s_mul_hi_u32 s36, s2, 18
	s_mul_i32 s37, s19, s3
	s_mul_hi_u32 s38, s18, s3
	s_mul_i32 s35, s35, 18
	s_mul_i32 s2, s2, 18
	;; [unrolled: 1-line block ×3, first 2 shown]
	s_add_i32 s37, s38, s37
	s_add_i32 s36, s36, s35
	s_mul_hi_u32 s35, s3, 18
	s_add_u32 s2, s20, s2
	s_mul_i32 s37, s37, 18
	s_mul_i32 s3, s3, 18
	s_addc_u32 s36, s21, s36
	s_add_i32 s35, s35, s37
	s_add_u32 s2, s2, s3
	s_addc_u32 s3, s36, s35
	s_add_u32 s2, s2, s34
	s_addc_u32 s3, s3, s33
	v_mad_u64_u32 v[10:11], s[2:3], v0, 18, s[2:3]
	s_add_u32 s14, s14, s5
	s_addc_u32 s15, s15, 0
	v_mad_u64_u32 v[12:13], s[2:3], v1, 18, v[11:12]
	v_add_co_u32_e32 v13, vcc, v10, v8
	v_mov_b32_e32 v11, v12
	v_addc_co_u32_e32 v14, vcc, 0, v12, vcc
	global_load_ushort v12, v[10:11], off
	global_load_ubyte v15, v[13:14], off offset:2
	v_mov_b32_e32 v11, s7
	v_mov_b32_e32 v10, s6
	v_cmp_ge_i64_e32 vcc, s[14:15], v[10:11]
	v_mov_b32_e32 v13, s30
	s_and_b64 vcc, exec, vcc
	s_waitcnt vmcnt(1)
	v_cvt_f32_f16_e32 v10, v12
	s_waitcnt vmcnt(0)
	v_and_b32_e32 v11, 15, v15
	v_lshrrev_b32_e32 v12, 4, v15
	v_add_u32_e32 v11, -8, v11
	v_add_u32_e32 v12, -8, v12
	v_cvt_f32_i32_e32 v11, v11
	v_cvt_f32_i32_e32 v12, v12
	v_mul_f32_e32 v11, v10, v11
	v_mul_f32_e32 v10, v10, v12
	global_store_dword v[6:7], v11, off offset:-64
	global_store_dword v[6:7], v10, off
	v_add_co_u32_e64 v6, s[2:3], s31, v6
	v_addc_co_u32_e64 v7, s[2:3], v7, v13, s[2:3]
	s_cbranch_vccz .LBB56_6
	s_branch .LBB56_3
.LBB56_7:
	s_endpgm
	.section	.rodata,"a",@progbits
	.p2align	6, 0x0
	.amdhsa_kernel _ZL16dequantize_blockILi32ELi2EXadL_ZL15dequantize_q4_0PKvliR15HIP_vector_typeIfLj2EEEEfEvS1_PT2_lllS2_IjLj3EElll
		.amdhsa_group_segment_fixed_size 0
		.amdhsa_private_segment_fixed_size 0
		.amdhsa_kernarg_size 336
		.amdhsa_user_sgpr_count 6
		.amdhsa_user_sgpr_private_segment_buffer 1
		.amdhsa_user_sgpr_dispatch_ptr 0
		.amdhsa_user_sgpr_queue_ptr 0
		.amdhsa_user_sgpr_kernarg_segment_ptr 1
		.amdhsa_user_sgpr_dispatch_id 0
		.amdhsa_user_sgpr_flat_scratch_init 0
		.amdhsa_user_sgpr_private_segment_size 0
		.amdhsa_uses_dynamic_stack 0
		.amdhsa_system_sgpr_private_segment_wavefront_offset 0
		.amdhsa_system_sgpr_workgroup_id_x 1
		.amdhsa_system_sgpr_workgroup_id_y 1
		.amdhsa_system_sgpr_workgroup_id_z 1
		.amdhsa_system_sgpr_workgroup_info 0
		.amdhsa_system_vgpr_workitem_id 0
		.amdhsa_next_free_vgpr 16
		.amdhsa_next_free_sgpr 39
		.amdhsa_reserve_vcc 1
		.amdhsa_reserve_flat_scratch 0
		.amdhsa_float_round_mode_32 0
		.amdhsa_float_round_mode_16_64 0
		.amdhsa_float_denorm_mode_32 3
		.amdhsa_float_denorm_mode_16_64 3
		.amdhsa_dx10_clamp 1
		.amdhsa_ieee_mode 1
		.amdhsa_fp16_overflow 0
		.amdhsa_exception_fp_ieee_invalid_op 0
		.amdhsa_exception_fp_denorm_src 0
		.amdhsa_exception_fp_ieee_div_zero 0
		.amdhsa_exception_fp_ieee_overflow 0
		.amdhsa_exception_fp_ieee_underflow 0
		.amdhsa_exception_fp_ieee_inexact 0
		.amdhsa_exception_int_div_zero 0
	.end_amdhsa_kernel
	.section	.text._ZL16dequantize_blockILi32ELi2EXadL_ZL15dequantize_q4_0PKvliR15HIP_vector_typeIfLj2EEEEfEvS1_PT2_lllS2_IjLj3EElll,"axG",@progbits,_ZL16dequantize_blockILi32ELi2EXadL_ZL15dequantize_q4_0PKvliR15HIP_vector_typeIfLj2EEEEfEvS1_PT2_lllS2_IjLj3EElll,comdat
.Lfunc_end56:
	.size	_ZL16dequantize_blockILi32ELi2EXadL_ZL15dequantize_q4_0PKvliR15HIP_vector_typeIfLj2EEEEfEvS1_PT2_lllS2_IjLj3EElll, .Lfunc_end56-_ZL16dequantize_blockILi32ELi2EXadL_ZL15dequantize_q4_0PKvliR15HIP_vector_typeIfLj2EEEEfEvS1_PT2_lllS2_IjLj3EElll
                                        ; -- End function
	.set _ZL16dequantize_blockILi32ELi2EXadL_ZL15dequantize_q4_0PKvliR15HIP_vector_typeIfLj2EEEEfEvS1_PT2_lllS2_IjLj3EElll.num_vgpr, 16
	.set _ZL16dequantize_blockILi32ELi2EXadL_ZL15dequantize_q4_0PKvliR15HIP_vector_typeIfLj2EEEEfEvS1_PT2_lllS2_IjLj3EElll.num_agpr, 0
	.set _ZL16dequantize_blockILi32ELi2EXadL_ZL15dequantize_q4_0PKvliR15HIP_vector_typeIfLj2EEEEfEvS1_PT2_lllS2_IjLj3EElll.numbered_sgpr, 39
	.set _ZL16dequantize_blockILi32ELi2EXadL_ZL15dequantize_q4_0PKvliR15HIP_vector_typeIfLj2EEEEfEvS1_PT2_lllS2_IjLj3EElll.num_named_barrier, 0
	.set _ZL16dequantize_blockILi32ELi2EXadL_ZL15dequantize_q4_0PKvliR15HIP_vector_typeIfLj2EEEEfEvS1_PT2_lllS2_IjLj3EElll.private_seg_size, 0
	.set _ZL16dequantize_blockILi32ELi2EXadL_ZL15dequantize_q4_0PKvliR15HIP_vector_typeIfLj2EEEEfEvS1_PT2_lllS2_IjLj3EElll.uses_vcc, 1
	.set _ZL16dequantize_blockILi32ELi2EXadL_ZL15dequantize_q4_0PKvliR15HIP_vector_typeIfLj2EEEEfEvS1_PT2_lllS2_IjLj3EElll.uses_flat_scratch, 0
	.set _ZL16dequantize_blockILi32ELi2EXadL_ZL15dequantize_q4_0PKvliR15HIP_vector_typeIfLj2EEEEfEvS1_PT2_lllS2_IjLj3EElll.has_dyn_sized_stack, 0
	.set _ZL16dequantize_blockILi32ELi2EXadL_ZL15dequantize_q4_0PKvliR15HIP_vector_typeIfLj2EEEEfEvS1_PT2_lllS2_IjLj3EElll.has_recursion, 0
	.set _ZL16dequantize_blockILi32ELi2EXadL_ZL15dequantize_q4_0PKvliR15HIP_vector_typeIfLj2EEEEfEvS1_PT2_lllS2_IjLj3EElll.has_indirect_call, 0
	.section	.AMDGPU.csdata,"",@progbits
; Kernel info:
; codeLenInByte = 756
; TotalNumSgprs: 43
; NumVgprs: 16
; ScratchSize: 0
; MemoryBound: 0
; FloatMode: 240
; IeeeMode: 1
; LDSByteSize: 0 bytes/workgroup (compile time only)
; SGPRBlocks: 5
; VGPRBlocks: 3
; NumSGPRsForWavesPerEU: 43
; NumVGPRsForWavesPerEU: 16
; Occupancy: 10
; WaveLimiterHint : 0
; COMPUTE_PGM_RSRC2:SCRATCH_EN: 0
; COMPUTE_PGM_RSRC2:USER_SGPR: 6
; COMPUTE_PGM_RSRC2:TRAP_HANDLER: 0
; COMPUTE_PGM_RSRC2:TGID_X_EN: 1
; COMPUTE_PGM_RSRC2:TGID_Y_EN: 1
; COMPUTE_PGM_RSRC2:TGID_Z_EN: 1
; COMPUTE_PGM_RSRC2:TIDIG_COMP_CNT: 0
	.section	.text._ZL16dequantize_blockILi32ELi2EXadL_ZL15dequantize_q4_1PKvliR15HIP_vector_typeIfLj2EEEEfEvS1_PT2_lllS2_IjLj3EElll,"axG",@progbits,_ZL16dequantize_blockILi32ELi2EXadL_ZL15dequantize_q4_1PKvliR15HIP_vector_typeIfLj2EEEEfEvS1_PT2_lllS2_IjLj3EElll,comdat
	.globl	_ZL16dequantize_blockILi32ELi2EXadL_ZL15dequantize_q4_1PKvliR15HIP_vector_typeIfLj2EEEEfEvS1_PT2_lllS2_IjLj3EElll ; -- Begin function _ZL16dequantize_blockILi32ELi2EXadL_ZL15dequantize_q4_1PKvliR15HIP_vector_typeIfLj2EEEEfEvS1_PT2_lllS2_IjLj3EElll
	.p2align	8
	.type	_ZL16dequantize_blockILi32ELi2EXadL_ZL15dequantize_q4_1PKvliR15HIP_vector_typeIfLj2EEEEfEvS1_PT2_lllS2_IjLj3EElll,@function
_ZL16dequantize_blockILi32ELi2EXadL_ZL15dequantize_q4_1PKvliR15HIP_vector_typeIfLj2EEEEfEvS1_PT2_lllS2_IjLj3EElll: ; @_ZL16dequantize_blockILi32ELi2EXadL_ZL15dequantize_q4_1PKvliR15HIP_vector_typeIfLj2EEEEfEvS1_PT2_lllS2_IjLj3EElll
; %bb.0:
	s_load_dword s0, s[4:5], 0x5c
	s_add_u32 s24, s4, 0x50
	s_addc_u32 s25, s5, 0
	v_mov_b32_e32 v1, 0
	v_mov_b32_e32 v2, s6
	s_waitcnt lgkmcnt(0)
	s_and_b32 s0, s0, 0xffff
	v_mad_u64_u32 v[2:3], s[0:1], s0, v2, v[0:1]
	s_load_dwordx4 s[0:3], s[4:5], 0x10
	s_mov_b32 s10, s7
	v_lshlrev_b64 v[0:1], 1, v[2:3]
	s_waitcnt lgkmcnt(0)
	v_cmp_gt_i64_e32 vcc, s[0:1], v[0:1]
	s_and_saveexec_b64 s[6:7], vcc
	s_cbranch_execz .LBB57_7
; %bb.1:
	s_load_dwordx2 s[6:7], s[4:5], 0x20
	s_mov_b32 s11, 0
	v_mov_b32_e32 v0, s10
	v_mov_b32_e32 v1, s11
	v_cmp_le_i64_e32 vcc, s[2:3], v[0:1]
	s_cbranch_vccnz .LBB57_7
; %bb.2:
	s_load_dwordx4 s[20:23], s[4:5], 0x0
	s_load_dwordx8 s[12:19], s[4:5], 0x28
	s_load_dwordx2 s[26:27], s[4:5], 0x48
	s_mul_i32 s4, s3, s8
	s_mul_hi_u32 s5, s2, s8
	s_add_i32 s5, s5, s4
	s_mul_i32 s4, s2, s8
	s_add_u32 s4, s4, s10
	s_addc_u32 s5, s5, 0
	v_lshrrev_b64 v[0:1], 4, v[2:3]
	s_mul_i32 s5, s0, s5
	s_waitcnt lgkmcnt(0)
	s_mul_hi_u32 s15, s0, s4
	s_add_i32 s5, s15, s5
	s_mul_i32 s15, s1, s4
	v_and_b32_e32 v8, 15, v2
	s_add_i32 s5, s5, s15
	s_mul_i32 s4, s0, s4
	v_lshlrev_b64 v[2:3], 7, v[0:1]
	s_lshl_b64 s[4:5], s[4:5], 2
	v_mov_b32_e32 v6, s5
	v_add_co_u32_e32 v2, vcc, s4, v2
	v_addc_co_u32_e32 v3, vcc, v6, v3, vcc
	v_lshlrev_b32_e32 v6, 2, v8
	v_add_co_u32_e32 v2, vcc, v2, v6
	s_load_dword s28, s[24:25], 0x4
	v_addc_co_u32_e32 v3, vcc, 0, v3, vcc
	v_mov_b32_e32 v6, s23
	v_add_co_u32_e32 v2, vcc, s22, v2
	v_addc_co_u32_e32 v3, vcc, v6, v3, vcc
	s_mov_b32 s9, s11
	v_mov_b32_e32 v4, s8
	v_add_co_u32_e32 v2, vcc, 64, v2
	v_mov_b32_e32 v5, s9
	v_addc_co_u32_e32 v3, vcc, 0, v3, vcc
	s_waitcnt lgkmcnt(0)
	s_mul_i32 s4, s1, s28
	s_mul_i32 s1, s2, s1
	s_mul_hi_u32 s15, s2, s0
	v_cmp_gt_i64_e32 vcc, s[6:7], v[4:5]
	s_mul_hi_u32 s5, s0, s28
	s_add_i32 s1, s15, s1
	s_mul_i32 s15, s3, s0
	s_add_i32 s5, s5, s4
	s_mul_i32 s4, s0, s28
	s_add_i32 s1, s1, s15
	s_mul_i32 s0, s2, s0
	v_cndmask_b32_e64 v4, 0, 1, vcc
	s_lshl_b64 s[4:5], s[4:5], 2
	s_lshl_b64 s[22:23], s[0:1], 2
	v_cmp_ne_u32_e64 s[0:1], 1, v4
	v_mov_b32_e32 v5, s3
	s_sub_i32 s29, 0, s14
	v_mov_b32_e32 v9, s5
	v_mov_b32_e32 v4, s2
	s_branch .LBB57_4
.LBB57_3:                               ;   in Loop: Header=BB57_4 Depth=1
	s_add_u32 s10, s10, s28
	s_addc_u32 s11, s11, 0
	v_cmp_ge_i64_e32 vcc, s[10:11], v[4:5]
	v_add_co_u32_e64 v2, s[2:3], s4, v2
	v_addc_co_u32_e64 v3, s[2:3], v3, v9, s[2:3]
	s_cbranch_vccnz .LBB57_7
.LBB57_4:                               ; =>This Loop Header: Depth=1
                                        ;     Child Loop BB57_6 Depth 2
	s_and_b64 vcc, exec, s[0:1]
	s_cbranch_vccnz .LBB57_3
; %bb.5:                                ;   in Loop: Header=BB57_4 Depth=1
	s_load_dword s5, s[24:25], 0x8
	s_mul_i32 s2, s10, s17
	s_mul_hi_u32 s3, s10, s16
	s_add_i32 s2, s3, s2
	s_mul_i32 s3, s11, s16
	s_add_i32 s2, s2, s3
	s_mul_i32 s3, s10, s16
	s_waitcnt lgkmcnt(0)
	s_mul_i32 s14, s23, s5
	s_mul_hi_u32 s15, s22, s5
	s_mul_i32 s2, s2, 20
	s_mul_hi_u32 s33, s3, 20
	v_mov_b32_e32 v7, v3
	s_add_i32 s30, s15, s14
	s_mul_i32 s31, s22, s5
	s_add_i32 s33, s33, s2
	s_mul_i32 s34, s3, 20
	v_mov_b32_e32 v6, v2
	s_mov_b64 s[14:15], s[8:9]
.LBB57_6:                               ;   Parent Loop BB57_4 Depth=1
                                        ; =>  This Inner Loop Header: Depth=2
	s_mul_hi_u32 s2, s12, s14
	s_add_i32 s2, s14, s2
	s_lshr_b32 s2, s2, s13
	s_mul_i32 s3, s29, s2
	s_mul_i32 s35, s27, s2
	s_mul_hi_u32 s36, s26, s2
	s_mul_i32 s2, s26, s2
	s_add_i32 s3, s14, s3
	s_add_i32 s35, s36, s35
	s_mul_hi_u32 s36, s2, 20
	s_mul_i32 s37, s19, s3
	s_mul_hi_u32 s38, s18, s3
	s_mul_i32 s35, s35, 20
	s_mul_i32 s2, s2, 20
	;; [unrolled: 1-line block ×3, first 2 shown]
	s_add_i32 s37, s38, s37
	s_add_i32 s36, s36, s35
	s_mul_hi_u32 s35, s3, 20
	s_add_u32 s2, s20, s2
	s_mul_i32 s37, s37, 20
	s_mul_i32 s3, s3, 20
	s_addc_u32 s36, s21, s36
	s_add_i32 s35, s35, s37
	s_add_u32 s2, s2, s3
	s_addc_u32 s3, s36, s35
	s_add_u32 s2, s2, s34
	s_addc_u32 s3, s3, s33
	v_mad_u64_u32 v[10:11], s[2:3], v0, 20, s[2:3]
	s_add_u32 s14, s14, s5
	s_addc_u32 s15, s15, 0
	v_mad_u64_u32 v[12:13], s[2:3], v1, 20, v[11:12]
	v_add_co_u32_e32 v13, vcc, v10, v8
	v_addc_co_u32_e32 v14, vcc, 0, v12, vcc
	v_mov_b32_e32 v11, v12
	global_load_ubyte v12, v[13:14], off offset:4
	global_load_dword v15, v[10:11], off
	v_mov_b32_e32 v11, s7
	v_mov_b32_e32 v10, s6
	v_cmp_ge_i64_e32 vcc, s[14:15], v[10:11]
	v_mov_b32_e32 v13, s30
	s_and_b64 vcc, exec, vcc
	s_waitcnt vmcnt(1)
	v_and_b32_e32 v10, 15, v12
	v_lshrrev_b32_e32 v11, 4, v12
	v_cvt_f32_ubyte0_e32 v10, v10
	v_cvt_f32_ubyte0_e32 v11, v11
	s_waitcnt vmcnt(0)
	v_fma_mix_f32 v10, v15, v10, v15 op_sel:[0,0,1] op_sel_hi:[1,0,1]
	v_fma_mix_f32 v11, v15, v11, v15 op_sel:[0,0,1] op_sel_hi:[1,0,1]
	global_store_dword v[6:7], v10, off offset:-64
	global_store_dword v[6:7], v11, off
	v_add_co_u32_e64 v6, s[2:3], s31, v6
	v_addc_co_u32_e64 v7, s[2:3], v7, v13, s[2:3]
	s_cbranch_vccz .LBB57_6
	s_branch .LBB57_3
.LBB57_7:
	s_endpgm
	.section	.rodata,"a",@progbits
	.p2align	6, 0x0
	.amdhsa_kernel _ZL16dequantize_blockILi32ELi2EXadL_ZL15dequantize_q4_1PKvliR15HIP_vector_typeIfLj2EEEEfEvS1_PT2_lllS2_IjLj3EElll
		.amdhsa_group_segment_fixed_size 0
		.amdhsa_private_segment_fixed_size 0
		.amdhsa_kernarg_size 336
		.amdhsa_user_sgpr_count 6
		.amdhsa_user_sgpr_private_segment_buffer 1
		.amdhsa_user_sgpr_dispatch_ptr 0
		.amdhsa_user_sgpr_queue_ptr 0
		.amdhsa_user_sgpr_kernarg_segment_ptr 1
		.amdhsa_user_sgpr_dispatch_id 0
		.amdhsa_user_sgpr_flat_scratch_init 0
		.amdhsa_user_sgpr_private_segment_size 0
		.amdhsa_uses_dynamic_stack 0
		.amdhsa_system_sgpr_private_segment_wavefront_offset 0
		.amdhsa_system_sgpr_workgroup_id_x 1
		.amdhsa_system_sgpr_workgroup_id_y 1
		.amdhsa_system_sgpr_workgroup_id_z 1
		.amdhsa_system_sgpr_workgroup_info 0
		.amdhsa_system_vgpr_workitem_id 0
		.amdhsa_next_free_vgpr 16
		.amdhsa_next_free_sgpr 39
		.amdhsa_reserve_vcc 1
		.amdhsa_reserve_flat_scratch 0
		.amdhsa_float_round_mode_32 0
		.amdhsa_float_round_mode_16_64 0
		.amdhsa_float_denorm_mode_32 3
		.amdhsa_float_denorm_mode_16_64 3
		.amdhsa_dx10_clamp 1
		.amdhsa_ieee_mode 1
		.amdhsa_fp16_overflow 0
		.amdhsa_exception_fp_ieee_invalid_op 0
		.amdhsa_exception_fp_denorm_src 0
		.amdhsa_exception_fp_ieee_div_zero 0
		.amdhsa_exception_fp_ieee_overflow 0
		.amdhsa_exception_fp_ieee_underflow 0
		.amdhsa_exception_fp_ieee_inexact 0
		.amdhsa_exception_int_div_zero 0
	.end_amdhsa_kernel
	.section	.text._ZL16dequantize_blockILi32ELi2EXadL_ZL15dequantize_q4_1PKvliR15HIP_vector_typeIfLj2EEEEfEvS1_PT2_lllS2_IjLj3EElll,"axG",@progbits,_ZL16dequantize_blockILi32ELi2EXadL_ZL15dequantize_q4_1PKvliR15HIP_vector_typeIfLj2EEEEfEvS1_PT2_lllS2_IjLj3EElll,comdat
.Lfunc_end57:
	.size	_ZL16dequantize_blockILi32ELi2EXadL_ZL15dequantize_q4_1PKvliR15HIP_vector_typeIfLj2EEEEfEvS1_PT2_lllS2_IjLj3EElll, .Lfunc_end57-_ZL16dequantize_blockILi32ELi2EXadL_ZL15dequantize_q4_1PKvliR15HIP_vector_typeIfLj2EEEEfEvS1_PT2_lllS2_IjLj3EElll
                                        ; -- End function
	.set _ZL16dequantize_blockILi32ELi2EXadL_ZL15dequantize_q4_1PKvliR15HIP_vector_typeIfLj2EEEEfEvS1_PT2_lllS2_IjLj3EElll.num_vgpr, 16
	.set _ZL16dequantize_blockILi32ELi2EXadL_ZL15dequantize_q4_1PKvliR15HIP_vector_typeIfLj2EEEEfEvS1_PT2_lllS2_IjLj3EElll.num_agpr, 0
	.set _ZL16dequantize_blockILi32ELi2EXadL_ZL15dequantize_q4_1PKvliR15HIP_vector_typeIfLj2EEEEfEvS1_PT2_lllS2_IjLj3EElll.numbered_sgpr, 39
	.set _ZL16dequantize_blockILi32ELi2EXadL_ZL15dequantize_q4_1PKvliR15HIP_vector_typeIfLj2EEEEfEvS1_PT2_lllS2_IjLj3EElll.num_named_barrier, 0
	.set _ZL16dequantize_blockILi32ELi2EXadL_ZL15dequantize_q4_1PKvliR15HIP_vector_typeIfLj2EEEEfEvS1_PT2_lllS2_IjLj3EElll.private_seg_size, 0
	.set _ZL16dequantize_blockILi32ELi2EXadL_ZL15dequantize_q4_1PKvliR15HIP_vector_typeIfLj2EEEEfEvS1_PT2_lllS2_IjLj3EElll.uses_vcc, 1
	.set _ZL16dequantize_blockILi32ELi2EXadL_ZL15dequantize_q4_1PKvliR15HIP_vector_typeIfLj2EEEEfEvS1_PT2_lllS2_IjLj3EElll.uses_flat_scratch, 0
	.set _ZL16dequantize_blockILi32ELi2EXadL_ZL15dequantize_q4_1PKvliR15HIP_vector_typeIfLj2EEEEfEvS1_PT2_lllS2_IjLj3EElll.has_dyn_sized_stack, 0
	.set _ZL16dequantize_blockILi32ELi2EXadL_ZL15dequantize_q4_1PKvliR15HIP_vector_typeIfLj2EEEEfEvS1_PT2_lllS2_IjLj3EElll.has_recursion, 0
	.set _ZL16dequantize_blockILi32ELi2EXadL_ZL15dequantize_q4_1PKvliR15HIP_vector_typeIfLj2EEEEfEvS1_PT2_lllS2_IjLj3EElll.has_indirect_call, 0
	.section	.AMDGPU.csdata,"",@progbits
; Kernel info:
; codeLenInByte = 752
; TotalNumSgprs: 43
; NumVgprs: 16
; ScratchSize: 0
; MemoryBound: 0
; FloatMode: 240
; IeeeMode: 1
; LDSByteSize: 0 bytes/workgroup (compile time only)
; SGPRBlocks: 5
; VGPRBlocks: 3
; NumSGPRsForWavesPerEU: 43
; NumVGPRsForWavesPerEU: 16
; Occupancy: 10
; WaveLimiterHint : 0
; COMPUTE_PGM_RSRC2:SCRATCH_EN: 0
; COMPUTE_PGM_RSRC2:USER_SGPR: 6
; COMPUTE_PGM_RSRC2:TRAP_HANDLER: 0
; COMPUTE_PGM_RSRC2:TGID_X_EN: 1
; COMPUTE_PGM_RSRC2:TGID_Y_EN: 1
; COMPUTE_PGM_RSRC2:TGID_Z_EN: 1
; COMPUTE_PGM_RSRC2:TIDIG_COMP_CNT: 0
	.section	.text._ZL16dequantize_blockILi32ELi2EXadL_ZL15dequantize_q5_0PKvliR15HIP_vector_typeIfLj2EEEEfEvS1_PT2_lllS2_IjLj3EElll,"axG",@progbits,_ZL16dequantize_blockILi32ELi2EXadL_ZL15dequantize_q5_0PKvliR15HIP_vector_typeIfLj2EEEEfEvS1_PT2_lllS2_IjLj3EElll,comdat
	.globl	_ZL16dequantize_blockILi32ELi2EXadL_ZL15dequantize_q5_0PKvliR15HIP_vector_typeIfLj2EEEEfEvS1_PT2_lllS2_IjLj3EElll ; -- Begin function _ZL16dequantize_blockILi32ELi2EXadL_ZL15dequantize_q5_0PKvliR15HIP_vector_typeIfLj2EEEEfEvS1_PT2_lllS2_IjLj3EElll
	.p2align	8
	.type	_ZL16dequantize_blockILi32ELi2EXadL_ZL15dequantize_q5_0PKvliR15HIP_vector_typeIfLj2EEEEfEvS1_PT2_lllS2_IjLj3EElll,@function
_ZL16dequantize_blockILi32ELi2EXadL_ZL15dequantize_q5_0PKvliR15HIP_vector_typeIfLj2EEEEfEvS1_PT2_lllS2_IjLj3EElll: ; @_ZL16dequantize_blockILi32ELi2EXadL_ZL15dequantize_q5_0PKvliR15HIP_vector_typeIfLj2EEEEfEvS1_PT2_lllS2_IjLj3EElll
; %bb.0:
	s_load_dword s0, s[4:5], 0x5c
	s_add_u32 s24, s4, 0x50
	s_addc_u32 s25, s5, 0
	v_mov_b32_e32 v1, 0
	v_mov_b32_e32 v2, s6
	s_waitcnt lgkmcnt(0)
	s_and_b32 s0, s0, 0xffff
	v_mad_u64_u32 v[2:3], s[0:1], s0, v2, v[0:1]
	s_load_dwordx4 s[0:3], s[4:5], 0x10
	s_mov_b32 s10, s7
	v_lshlrev_b64 v[0:1], 1, v[2:3]
	s_waitcnt lgkmcnt(0)
	v_cmp_gt_i64_e32 vcc, s[0:1], v[0:1]
	s_and_saveexec_b64 s[6:7], vcc
	s_cbranch_execz .LBB58_7
; %bb.1:
	s_load_dwordx2 s[6:7], s[4:5], 0x20
	s_mov_b32 s11, 0
	v_mov_b32_e32 v0, s10
	v_mov_b32_e32 v1, s11
	v_cmp_le_i64_e32 vcc, s[2:3], v[0:1]
	s_cbranch_vccnz .LBB58_7
; %bb.2:
	s_load_dwordx4 s[20:23], s[4:5], 0x0
	s_load_dwordx8 s[12:19], s[4:5], 0x28
	s_load_dwordx2 s[26:27], s[4:5], 0x48
	s_mul_i32 s4, s3, s8
	s_mul_hi_u32 s5, s2, s8
	s_add_i32 s5, s5, s4
	s_mul_i32 s4, s2, s8
	s_add_u32 s4, s4, s10
	s_addc_u32 s5, s5, 0
	v_lshrrev_b64 v[0:1], 4, v[2:3]
	s_mul_i32 s5, s0, s5
	s_waitcnt lgkmcnt(0)
	s_mul_hi_u32 s15, s0, s4
	s_add_i32 s5, s15, s5
	s_mul_i32 s15, s1, s4
	v_and_b32_e32 v8, 15, v2
	s_add_i32 s5, s5, s15
	s_mul_i32 s4, s0, s4
	v_lshlrev_b64 v[2:3], 7, v[0:1]
	s_lshl_b64 s[4:5], s[4:5], 2
	v_mov_b32_e32 v6, s5
	v_add_co_u32_e32 v2, vcc, s4, v2
	v_addc_co_u32_e32 v3, vcc, v6, v3, vcc
	v_lshlrev_b32_e32 v6, 2, v8
	v_add_co_u32_e32 v2, vcc, v2, v6
	s_load_dword s28, s[24:25], 0x4
	v_addc_co_u32_e32 v3, vcc, 0, v3, vcc
	v_mov_b32_e32 v6, s23
	v_add_co_u32_e32 v2, vcc, s22, v2
	v_addc_co_u32_e32 v3, vcc, v6, v3, vcc
	s_mov_b32 s9, s11
	v_mov_b32_e32 v4, s8
	v_add_co_u32_e32 v2, vcc, 64, v2
	v_mov_b32_e32 v5, s9
	v_addc_co_u32_e32 v3, vcc, 0, v3, vcc
	s_waitcnt lgkmcnt(0)
	s_mul_i32 s4, s1, s28
	s_mul_i32 s1, s2, s1
	s_mul_hi_u32 s15, s2, s0
	v_cmp_gt_i64_e32 vcc, s[6:7], v[4:5]
	s_mul_hi_u32 s5, s0, s28
	s_add_i32 s1, s15, s1
	s_mul_i32 s15, s3, s0
	s_add_i32 s5, s5, s4
	s_mul_i32 s4, s0, s28
	;; [unrolled: 2-line block ×3, first 2 shown]
	v_cndmask_b32_e64 v4, 0, 1, vcc
	s_lshl_b64 s[4:5], s[4:5], 2
	s_lshl_b64 s[22:23], s[0:1], 2
	v_cmp_ne_u32_e64 s[0:1], 1, v4
	v_mov_b32_e32 v5, s3
	v_add_u32_e32 v9, 12, v8
	s_sub_i32 s29, 0, s14
	s_mov_b32 s30, 0x1000706
	v_mov_b32_e32 v10, s5
	v_mov_b32_e32 v4, s2
	s_branch .LBB58_4
.LBB58_3:                               ;   in Loop: Header=BB58_4 Depth=1
	s_add_u32 s10, s10, s28
	s_addc_u32 s11, s11, 0
	v_cmp_ge_i64_e32 vcc, s[10:11], v[4:5]
	v_add_co_u32_e64 v2, s[2:3], s4, v2
	v_addc_co_u32_e64 v3, s[2:3], v3, v10, s[2:3]
	s_cbranch_vccnz .LBB58_7
.LBB58_4:                               ; =>This Loop Header: Depth=1
                                        ;     Child Loop BB58_6 Depth 2
	s_and_b64 vcc, exec, s[0:1]
	s_cbranch_vccnz .LBB58_3
; %bb.5:                                ;   in Loop: Header=BB58_4 Depth=1
	s_load_dword s5, s[24:25], 0x8
	s_mul_i32 s2, s10, s17
	s_mul_hi_u32 s3, s10, s16
	s_add_i32 s2, s3, s2
	s_mul_i32 s3, s11, s16
	s_add_i32 s2, s2, s3
	s_mul_i32 s3, s10, s16
	s_waitcnt lgkmcnt(0)
	s_mul_i32 s14, s23, s5
	s_mul_hi_u32 s15, s22, s5
	s_mul_i32 s2, s2, 22
	s_mul_hi_u32 s34, s3, 22
	v_mov_b32_e32 v7, v3
	s_add_i32 s31, s15, s14
	s_mul_i32 s33, s22, s5
	s_add_i32 s34, s34, s2
	s_mul_i32 s35, s3, 22
	v_mov_b32_e32 v6, v2
	s_mov_b64 s[14:15], s[8:9]
.LBB58_6:                               ;   Parent Loop BB58_4 Depth=1
                                        ; =>  This Inner Loop Header: Depth=2
	s_mul_hi_u32 s2, s12, s14
	s_add_i32 s2, s14, s2
	s_lshr_b32 s2, s2, s13
	s_mul_i32 s3, s29, s2
	s_mul_i32 s36, s27, s2
	s_mul_hi_u32 s37, s26, s2
	s_mul_i32 s2, s26, s2
	s_add_i32 s3, s14, s3
	s_add_i32 s36, s37, s36
	s_mul_hi_u32 s37, s2, 22
	s_mul_i32 s38, s19, s3
	s_mul_hi_u32 s39, s18, s3
	s_mul_i32 s36, s36, 22
	s_mul_i32 s2, s2, 22
	;; [unrolled: 1-line block ×3, first 2 shown]
	s_add_i32 s38, s39, s38
	s_add_i32 s37, s37, s36
	s_mul_hi_u32 s36, s3, 22
	s_add_u32 s2, s20, s2
	s_mul_i32 s38, s38, 22
	s_mul_i32 s3, s3, 22
	s_addc_u32 s37, s21, s37
	s_add_i32 s36, s36, s38
	s_add_u32 s2, s2, s3
	s_addc_u32 s3, s37, s36
	s_add_u32 s2, s2, s35
	s_addc_u32 s3, s3, s34
	v_mad_u64_u32 v[11:12], s[2:3], v0, 22, s[2:3]
	s_add_u32 s14, s14, s5
	s_addc_u32 s15, s15, 0
	v_mad_u64_u32 v[13:14], s[2:3], v1, 22, v[12:13]
	v_add_co_u32_e32 v14, vcc, v11, v8
	v_mov_b32_e32 v12, v13
	v_addc_co_u32_e32 v15, vcc, 0, v13, vcc
	global_load_dword v13, v[11:12], off
	global_load_ushort v16, v[11:12], off offset:4
	global_load_ubyte v17, v[14:15], off offset:6
	v_mov_b32_e32 v12, s7
	v_mov_b32_e32 v11, s6
	v_cmp_ge_i64_e32 vcc, s[14:15], v[11:12]
	v_mov_b32_e32 v14, s31
	s_and_b64 vcc, exec, vcc
	s_waitcnt vmcnt(2)
	v_cvt_f32_f16_e32 v11, v13
	s_waitcnt vmcnt(1)
	v_perm_b32 v12, v13, v16, s30
	s_waitcnt vmcnt(0)
	v_lshrrev_b16_e32 v13, 4, v17
	v_lshrrev_b32_e32 v16, v8, v12
	v_lshrrev_b32_e32 v12, v9, v12
	v_or_b32_e32 v13, -16, v13
	v_lshlrev_b32_e32 v16, 4, v16
	v_and_b32_e32 v12, 16, v12
	v_or_b32_e32 v15, -16, v17
	v_and_b32_e32 v16, 16, v16
	v_add_u32_sdwa v12, v12, sext(v13) dst_sel:DWORD dst_unused:UNUSED_PAD src0_sel:DWORD src1_sel:WORD_0
	v_add_u32_e32 v13, v15, v16
	v_cvt_f32_i32_e32 v12, v12
	v_cvt_f32_i32_e32 v13, v13
	v_mul_f32_e32 v12, v11, v12
	v_mul_f32_e32 v11, v11, v13
	global_store_dword v[6:7], v12, off
	global_store_dword v[6:7], v11, off offset:-64
	v_add_co_u32_e64 v6, s[2:3], s33, v6
	v_addc_co_u32_e64 v7, s[2:3], v7, v14, s[2:3]
	s_cbranch_vccz .LBB58_6
	s_branch .LBB58_3
.LBB58_7:
	s_endpgm
	.section	.rodata,"a",@progbits
	.p2align	6, 0x0
	.amdhsa_kernel _ZL16dequantize_blockILi32ELi2EXadL_ZL15dequantize_q5_0PKvliR15HIP_vector_typeIfLj2EEEEfEvS1_PT2_lllS2_IjLj3EElll
		.amdhsa_group_segment_fixed_size 0
		.amdhsa_private_segment_fixed_size 0
		.amdhsa_kernarg_size 336
		.amdhsa_user_sgpr_count 6
		.amdhsa_user_sgpr_private_segment_buffer 1
		.amdhsa_user_sgpr_dispatch_ptr 0
		.amdhsa_user_sgpr_queue_ptr 0
		.amdhsa_user_sgpr_kernarg_segment_ptr 1
		.amdhsa_user_sgpr_dispatch_id 0
		.amdhsa_user_sgpr_flat_scratch_init 0
		.amdhsa_user_sgpr_private_segment_size 0
		.amdhsa_uses_dynamic_stack 0
		.amdhsa_system_sgpr_private_segment_wavefront_offset 0
		.amdhsa_system_sgpr_workgroup_id_x 1
		.amdhsa_system_sgpr_workgroup_id_y 1
		.amdhsa_system_sgpr_workgroup_id_z 1
		.amdhsa_system_sgpr_workgroup_info 0
		.amdhsa_system_vgpr_workitem_id 0
		.amdhsa_next_free_vgpr 18
		.amdhsa_next_free_sgpr 40
		.amdhsa_reserve_vcc 1
		.amdhsa_reserve_flat_scratch 0
		.amdhsa_float_round_mode_32 0
		.amdhsa_float_round_mode_16_64 0
		.amdhsa_float_denorm_mode_32 3
		.amdhsa_float_denorm_mode_16_64 3
		.amdhsa_dx10_clamp 1
		.amdhsa_ieee_mode 1
		.amdhsa_fp16_overflow 0
		.amdhsa_exception_fp_ieee_invalid_op 0
		.amdhsa_exception_fp_denorm_src 0
		.amdhsa_exception_fp_ieee_div_zero 0
		.amdhsa_exception_fp_ieee_overflow 0
		.amdhsa_exception_fp_ieee_underflow 0
		.amdhsa_exception_fp_ieee_inexact 0
		.amdhsa_exception_int_div_zero 0
	.end_amdhsa_kernel
	.section	.text._ZL16dequantize_blockILi32ELi2EXadL_ZL15dequantize_q5_0PKvliR15HIP_vector_typeIfLj2EEEEfEvS1_PT2_lllS2_IjLj3EElll,"axG",@progbits,_ZL16dequantize_blockILi32ELi2EXadL_ZL15dequantize_q5_0PKvliR15HIP_vector_typeIfLj2EEEEfEvS1_PT2_lllS2_IjLj3EElll,comdat
.Lfunc_end58:
	.size	_ZL16dequantize_blockILi32ELi2EXadL_ZL15dequantize_q5_0PKvliR15HIP_vector_typeIfLj2EEEEfEvS1_PT2_lllS2_IjLj3EElll, .Lfunc_end58-_ZL16dequantize_blockILi32ELi2EXadL_ZL15dequantize_q5_0PKvliR15HIP_vector_typeIfLj2EEEEfEvS1_PT2_lllS2_IjLj3EElll
                                        ; -- End function
	.set _ZL16dequantize_blockILi32ELi2EXadL_ZL15dequantize_q5_0PKvliR15HIP_vector_typeIfLj2EEEEfEvS1_PT2_lllS2_IjLj3EElll.num_vgpr, 18
	.set _ZL16dequantize_blockILi32ELi2EXadL_ZL15dequantize_q5_0PKvliR15HIP_vector_typeIfLj2EEEEfEvS1_PT2_lllS2_IjLj3EElll.num_agpr, 0
	.set _ZL16dequantize_blockILi32ELi2EXadL_ZL15dequantize_q5_0PKvliR15HIP_vector_typeIfLj2EEEEfEvS1_PT2_lllS2_IjLj3EElll.numbered_sgpr, 40
	.set _ZL16dequantize_blockILi32ELi2EXadL_ZL15dequantize_q5_0PKvliR15HIP_vector_typeIfLj2EEEEfEvS1_PT2_lllS2_IjLj3EElll.num_named_barrier, 0
	.set _ZL16dequantize_blockILi32ELi2EXadL_ZL15dequantize_q5_0PKvliR15HIP_vector_typeIfLj2EEEEfEvS1_PT2_lllS2_IjLj3EElll.private_seg_size, 0
	.set _ZL16dequantize_blockILi32ELi2EXadL_ZL15dequantize_q5_0PKvliR15HIP_vector_typeIfLj2EEEEfEvS1_PT2_lllS2_IjLj3EElll.uses_vcc, 1
	.set _ZL16dequantize_blockILi32ELi2EXadL_ZL15dequantize_q5_0PKvliR15HIP_vector_typeIfLj2EEEEfEvS1_PT2_lllS2_IjLj3EElll.uses_flat_scratch, 0
	.set _ZL16dequantize_blockILi32ELi2EXadL_ZL15dequantize_q5_0PKvliR15HIP_vector_typeIfLj2EEEEfEvS1_PT2_lllS2_IjLj3EElll.has_dyn_sized_stack, 0
	.set _ZL16dequantize_blockILi32ELi2EXadL_ZL15dequantize_q5_0PKvliR15HIP_vector_typeIfLj2EEEEfEvS1_PT2_lllS2_IjLj3EElll.has_recursion, 0
	.set _ZL16dequantize_blockILi32ELi2EXadL_ZL15dequantize_q5_0PKvliR15HIP_vector_typeIfLj2EEEEfEvS1_PT2_lllS2_IjLj3EElll.has_indirect_call, 0
	.section	.AMDGPU.csdata,"",@progbits
; Kernel info:
; codeLenInByte = 816
; TotalNumSgprs: 44
; NumVgprs: 18
; ScratchSize: 0
; MemoryBound: 0
; FloatMode: 240
; IeeeMode: 1
; LDSByteSize: 0 bytes/workgroup (compile time only)
; SGPRBlocks: 5
; VGPRBlocks: 4
; NumSGPRsForWavesPerEU: 44
; NumVGPRsForWavesPerEU: 18
; Occupancy: 10
; WaveLimiterHint : 0
; COMPUTE_PGM_RSRC2:SCRATCH_EN: 0
; COMPUTE_PGM_RSRC2:USER_SGPR: 6
; COMPUTE_PGM_RSRC2:TRAP_HANDLER: 0
; COMPUTE_PGM_RSRC2:TGID_X_EN: 1
; COMPUTE_PGM_RSRC2:TGID_Y_EN: 1
; COMPUTE_PGM_RSRC2:TGID_Z_EN: 1
; COMPUTE_PGM_RSRC2:TIDIG_COMP_CNT: 0
	.section	.text._ZL16dequantize_blockILi32ELi2EXadL_ZL15dequantize_q5_1PKvliR15HIP_vector_typeIfLj2EEEEfEvS1_PT2_lllS2_IjLj3EElll,"axG",@progbits,_ZL16dequantize_blockILi32ELi2EXadL_ZL15dequantize_q5_1PKvliR15HIP_vector_typeIfLj2EEEEfEvS1_PT2_lllS2_IjLj3EElll,comdat
	.globl	_ZL16dequantize_blockILi32ELi2EXadL_ZL15dequantize_q5_1PKvliR15HIP_vector_typeIfLj2EEEEfEvS1_PT2_lllS2_IjLj3EElll ; -- Begin function _ZL16dequantize_blockILi32ELi2EXadL_ZL15dequantize_q5_1PKvliR15HIP_vector_typeIfLj2EEEEfEvS1_PT2_lllS2_IjLj3EElll
	.p2align	8
	.type	_ZL16dequantize_blockILi32ELi2EXadL_ZL15dequantize_q5_1PKvliR15HIP_vector_typeIfLj2EEEEfEvS1_PT2_lllS2_IjLj3EElll,@function
_ZL16dequantize_blockILi32ELi2EXadL_ZL15dequantize_q5_1PKvliR15HIP_vector_typeIfLj2EEEEfEvS1_PT2_lllS2_IjLj3EElll: ; @_ZL16dequantize_blockILi32ELi2EXadL_ZL15dequantize_q5_1PKvliR15HIP_vector_typeIfLj2EEEEfEvS1_PT2_lllS2_IjLj3EElll
; %bb.0:
	s_load_dword s0, s[4:5], 0x5c
	s_add_u32 s24, s4, 0x50
	s_addc_u32 s25, s5, 0
	v_mov_b32_e32 v1, 0
	v_mov_b32_e32 v2, s6
	s_waitcnt lgkmcnt(0)
	s_and_b32 s0, s0, 0xffff
	v_mad_u64_u32 v[2:3], s[0:1], s0, v2, v[0:1]
	s_load_dwordx4 s[0:3], s[4:5], 0x10
	s_mov_b32 s10, s7
	v_lshlrev_b64 v[0:1], 1, v[2:3]
	s_waitcnt lgkmcnt(0)
	v_cmp_gt_i64_e32 vcc, s[0:1], v[0:1]
	s_and_saveexec_b64 s[6:7], vcc
	s_cbranch_execz .LBB59_7
; %bb.1:
	s_load_dwordx2 s[6:7], s[4:5], 0x20
	s_mov_b32 s11, 0
	v_mov_b32_e32 v0, s10
	v_mov_b32_e32 v1, s11
	v_cmp_le_i64_e32 vcc, s[2:3], v[0:1]
	s_cbranch_vccnz .LBB59_7
; %bb.2:
	s_load_dwordx4 s[20:23], s[4:5], 0x0
	s_load_dwordx8 s[12:19], s[4:5], 0x28
	s_load_dwordx2 s[26:27], s[4:5], 0x48
	s_mul_i32 s4, s3, s8
	s_mul_hi_u32 s5, s2, s8
	s_add_i32 s5, s5, s4
	s_mul_i32 s4, s2, s8
	s_add_u32 s4, s4, s10
	s_addc_u32 s5, s5, 0
	v_lshrrev_b64 v[0:1], 4, v[2:3]
	s_mul_i32 s5, s0, s5
	s_waitcnt lgkmcnt(0)
	s_mul_hi_u32 s15, s0, s4
	s_add_i32 s5, s15, s5
	s_mul_i32 s15, s1, s4
	v_and_b32_e32 v8, 15, v2
	s_add_i32 s5, s5, s15
	s_mul_i32 s4, s0, s4
	v_lshlrev_b64 v[2:3], 7, v[0:1]
	s_lshl_b64 s[4:5], s[4:5], 2
	v_mov_b32_e32 v6, s5
	v_add_co_u32_e32 v2, vcc, s4, v2
	v_addc_co_u32_e32 v3, vcc, v6, v3, vcc
	v_lshlrev_b32_e32 v6, 2, v8
	v_add_co_u32_e32 v2, vcc, v2, v6
	s_load_dword s28, s[24:25], 0x4
	v_addc_co_u32_e32 v3, vcc, 0, v3, vcc
	v_mov_b32_e32 v6, s23
	v_add_co_u32_e32 v2, vcc, s22, v2
	v_addc_co_u32_e32 v3, vcc, v6, v3, vcc
	s_mov_b32 s9, s11
	v_mov_b32_e32 v4, s8
	v_add_co_u32_e32 v2, vcc, 64, v2
	v_mov_b32_e32 v5, s9
	v_addc_co_u32_e32 v3, vcc, 0, v3, vcc
	s_waitcnt lgkmcnt(0)
	s_mul_i32 s4, s1, s28
	s_mul_i32 s1, s2, s1
	s_mul_hi_u32 s15, s2, s0
	v_cmp_gt_i64_e32 vcc, s[6:7], v[4:5]
	s_mul_hi_u32 s5, s0, s28
	s_add_i32 s1, s15, s1
	s_mul_i32 s15, s3, s0
	s_add_i32 s5, s5, s4
	s_mul_i32 s4, s0, s28
	;; [unrolled: 2-line block ×3, first 2 shown]
	v_cndmask_b32_e64 v4, 0, 1, vcc
	s_lshl_b64 s[4:5], s[4:5], 2
	s_lshl_b64 s[22:23], s[0:1], 2
	v_cmp_ne_u32_e64 s[0:1], 1, v4
	v_mov_b32_e32 v5, s3
	v_add_u32_e32 v9, 12, v8
	s_sub_i32 s29, 0, s14
	v_mov_b32_e32 v10, s5
	v_mov_b32_e32 v4, s2
	s_branch .LBB59_4
.LBB59_3:                               ;   in Loop: Header=BB59_4 Depth=1
	s_add_u32 s10, s10, s28
	s_addc_u32 s11, s11, 0
	v_cmp_ge_i64_e32 vcc, s[10:11], v[4:5]
	v_add_co_u32_e64 v2, s[2:3], s4, v2
	v_addc_co_u32_e64 v3, s[2:3], v3, v10, s[2:3]
	s_cbranch_vccnz .LBB59_7
.LBB59_4:                               ; =>This Loop Header: Depth=1
                                        ;     Child Loop BB59_6 Depth 2
	s_and_b64 vcc, exec, s[0:1]
	s_cbranch_vccnz .LBB59_3
; %bb.5:                                ;   in Loop: Header=BB59_4 Depth=1
	s_load_dword s5, s[24:25], 0x8
	s_mul_i32 s2, s10, s17
	s_mul_hi_u32 s3, s10, s16
	s_add_i32 s2, s3, s2
	s_mul_i32 s3, s11, s16
	s_add_i32 s2, s2, s3
	s_mul_i32 s3, s10, s16
	s_waitcnt lgkmcnt(0)
	s_mul_i32 s14, s23, s5
	s_mul_hi_u32 s15, s22, s5
	s_mul_i32 s2, s2, 24
	s_mul_hi_u32 s33, s3, 24
	v_mov_b32_e32 v7, v3
	s_add_i32 s30, s15, s14
	s_mul_i32 s31, s22, s5
	s_add_i32 s33, s33, s2
	s_mul_i32 s34, s3, 24
	v_mov_b32_e32 v6, v2
	s_mov_b64 s[14:15], s[8:9]
.LBB59_6:                               ;   Parent Loop BB59_4 Depth=1
                                        ; =>  This Inner Loop Header: Depth=2
	s_mul_hi_u32 s2, s12, s14
	s_add_i32 s2, s14, s2
	s_lshr_b32 s2, s2, s13
	s_mul_i32 s3, s29, s2
	s_mul_i32 s35, s27, s2
	s_mul_hi_u32 s36, s26, s2
	s_mul_i32 s2, s26, s2
	s_add_i32 s3, s14, s3
	s_add_i32 s35, s36, s35
	s_mul_hi_u32 s36, s2, 24
	s_mul_i32 s37, s19, s3
	s_mul_hi_u32 s38, s18, s3
	s_mul_i32 s35, s35, 24
	s_mul_i32 s2, s2, 24
	s_mul_i32 s3, s18, s3
	s_add_i32 s37, s38, s37
	s_add_i32 s36, s36, s35
	s_mul_hi_u32 s35, s3, 24
	s_add_u32 s2, s20, s2
	s_mul_i32 s37, s37, 24
	s_mul_i32 s3, s3, 24
	s_addc_u32 s36, s21, s36
	s_add_i32 s35, s35, s37
	s_add_u32 s2, s2, s3
	s_addc_u32 s3, s36, s35
	s_add_u32 s2, s2, s34
	s_addc_u32 s3, s3, s33
	v_mad_u64_u32 v[11:12], s[2:3], v0, 24, s[2:3]
	s_add_u32 s14, s14, s5
	s_addc_u32 s15, s15, 0
	v_mad_u64_u32 v[13:14], s[2:3], v1, 24, v[12:13]
	v_add_co_u32_e32 v14, vcc, v11, v8
	v_mov_b32_e32 v12, v13
	v_addc_co_u32_e32 v15, vcc, 0, v13, vcc
	global_load_dwordx2 v[16:17], v[11:12], off
	global_load_ubyte v13, v[14:15], off offset:8
	v_mov_b32_e32 v12, s7
	v_mov_b32_e32 v11, s6
	v_cmp_ge_i64_e32 vcc, s[14:15], v[11:12]
	v_mov_b32_e32 v14, s30
	s_and_b64 vcc, exec, vcc
	s_waitcnt vmcnt(1)
	v_lshrrev_b32_e32 v11, v8, v17
	v_lshrrev_b32_e32 v12, v9, v17
	s_waitcnt vmcnt(0)
	v_and_b32_e32 v15, 15, v13
	v_lshrrev_b16_e32 v13, 4, v13
	v_lshlrev_b32_e32 v11, 4, v11
	v_and_or_b32 v12, v12, 16, v13
	v_and_or_b32 v11, v11, 16, v15
	v_cvt_f32_ubyte0_e32 v12, v12
	v_cvt_f32_ubyte0_e32 v11, v11
	v_fma_mix_f32 v12, v16, v12, v16 op_sel:[0,0,1] op_sel_hi:[1,0,1]
	v_fma_mix_f32 v11, v16, v11, v16 op_sel:[0,0,1] op_sel_hi:[1,0,1]
	global_store_dword v[6:7], v12, off
	global_store_dword v[6:7], v11, off offset:-64
	v_add_co_u32_e64 v6, s[2:3], s31, v6
	v_addc_co_u32_e64 v7, s[2:3], v7, v14, s[2:3]
	s_cbranch_vccz .LBB59_6
	s_branch .LBB59_3
.LBB59_7:
	s_endpgm
	.section	.rodata,"a",@progbits
	.p2align	6, 0x0
	.amdhsa_kernel _ZL16dequantize_blockILi32ELi2EXadL_ZL15dequantize_q5_1PKvliR15HIP_vector_typeIfLj2EEEEfEvS1_PT2_lllS2_IjLj3EElll
		.amdhsa_group_segment_fixed_size 0
		.amdhsa_private_segment_fixed_size 0
		.amdhsa_kernarg_size 336
		.amdhsa_user_sgpr_count 6
		.amdhsa_user_sgpr_private_segment_buffer 1
		.amdhsa_user_sgpr_dispatch_ptr 0
		.amdhsa_user_sgpr_queue_ptr 0
		.amdhsa_user_sgpr_kernarg_segment_ptr 1
		.amdhsa_user_sgpr_dispatch_id 0
		.amdhsa_user_sgpr_flat_scratch_init 0
		.amdhsa_user_sgpr_private_segment_size 0
		.amdhsa_uses_dynamic_stack 0
		.amdhsa_system_sgpr_private_segment_wavefront_offset 0
		.amdhsa_system_sgpr_workgroup_id_x 1
		.amdhsa_system_sgpr_workgroup_id_y 1
		.amdhsa_system_sgpr_workgroup_id_z 1
		.amdhsa_system_sgpr_workgroup_info 0
		.amdhsa_system_vgpr_workitem_id 0
		.amdhsa_next_free_vgpr 18
		.amdhsa_next_free_sgpr 39
		.amdhsa_reserve_vcc 1
		.amdhsa_reserve_flat_scratch 0
		.amdhsa_float_round_mode_32 0
		.amdhsa_float_round_mode_16_64 0
		.amdhsa_float_denorm_mode_32 3
		.amdhsa_float_denorm_mode_16_64 3
		.amdhsa_dx10_clamp 1
		.amdhsa_ieee_mode 1
		.amdhsa_fp16_overflow 0
		.amdhsa_exception_fp_ieee_invalid_op 0
		.amdhsa_exception_fp_denorm_src 0
		.amdhsa_exception_fp_ieee_div_zero 0
		.amdhsa_exception_fp_ieee_overflow 0
		.amdhsa_exception_fp_ieee_underflow 0
		.amdhsa_exception_fp_ieee_inexact 0
		.amdhsa_exception_int_div_zero 0
	.end_amdhsa_kernel
	.section	.text._ZL16dequantize_blockILi32ELi2EXadL_ZL15dequantize_q5_1PKvliR15HIP_vector_typeIfLj2EEEEfEvS1_PT2_lllS2_IjLj3EElll,"axG",@progbits,_ZL16dequantize_blockILi32ELi2EXadL_ZL15dequantize_q5_1PKvliR15HIP_vector_typeIfLj2EEEEfEvS1_PT2_lllS2_IjLj3EElll,comdat
.Lfunc_end59:
	.size	_ZL16dequantize_blockILi32ELi2EXadL_ZL15dequantize_q5_1PKvliR15HIP_vector_typeIfLj2EEEEfEvS1_PT2_lllS2_IjLj3EElll, .Lfunc_end59-_ZL16dequantize_blockILi32ELi2EXadL_ZL15dequantize_q5_1PKvliR15HIP_vector_typeIfLj2EEEEfEvS1_PT2_lllS2_IjLj3EElll
                                        ; -- End function
	.set _ZL16dequantize_blockILi32ELi2EXadL_ZL15dequantize_q5_1PKvliR15HIP_vector_typeIfLj2EEEEfEvS1_PT2_lllS2_IjLj3EElll.num_vgpr, 18
	.set _ZL16dequantize_blockILi32ELi2EXadL_ZL15dequantize_q5_1PKvliR15HIP_vector_typeIfLj2EEEEfEvS1_PT2_lllS2_IjLj3EElll.num_agpr, 0
	.set _ZL16dequantize_blockILi32ELi2EXadL_ZL15dequantize_q5_1PKvliR15HIP_vector_typeIfLj2EEEEfEvS1_PT2_lllS2_IjLj3EElll.numbered_sgpr, 39
	.set _ZL16dequantize_blockILi32ELi2EXadL_ZL15dequantize_q5_1PKvliR15HIP_vector_typeIfLj2EEEEfEvS1_PT2_lllS2_IjLj3EElll.num_named_barrier, 0
	.set _ZL16dequantize_blockILi32ELi2EXadL_ZL15dequantize_q5_1PKvliR15HIP_vector_typeIfLj2EEEEfEvS1_PT2_lllS2_IjLj3EElll.private_seg_size, 0
	.set _ZL16dequantize_blockILi32ELi2EXadL_ZL15dequantize_q5_1PKvliR15HIP_vector_typeIfLj2EEEEfEvS1_PT2_lllS2_IjLj3EElll.uses_vcc, 1
	.set _ZL16dequantize_blockILi32ELi2EXadL_ZL15dequantize_q5_1PKvliR15HIP_vector_typeIfLj2EEEEfEvS1_PT2_lllS2_IjLj3EElll.uses_flat_scratch, 0
	.set _ZL16dequantize_blockILi32ELi2EXadL_ZL15dequantize_q5_1PKvliR15HIP_vector_typeIfLj2EEEEfEvS1_PT2_lllS2_IjLj3EElll.has_dyn_sized_stack, 0
	.set _ZL16dequantize_blockILi32ELi2EXadL_ZL15dequantize_q5_1PKvliR15HIP_vector_typeIfLj2EEEEfEvS1_PT2_lllS2_IjLj3EElll.has_recursion, 0
	.set _ZL16dequantize_blockILi32ELi2EXadL_ZL15dequantize_q5_1PKvliR15HIP_vector_typeIfLj2EEEEfEvS1_PT2_lllS2_IjLj3EElll.has_indirect_call, 0
	.section	.AMDGPU.csdata,"",@progbits
; Kernel info:
; codeLenInByte = 784
; TotalNumSgprs: 43
; NumVgprs: 18
; ScratchSize: 0
; MemoryBound: 0
; FloatMode: 240
; IeeeMode: 1
; LDSByteSize: 0 bytes/workgroup (compile time only)
; SGPRBlocks: 5
; VGPRBlocks: 4
; NumSGPRsForWavesPerEU: 43
; NumVGPRsForWavesPerEU: 18
; Occupancy: 10
; WaveLimiterHint : 0
; COMPUTE_PGM_RSRC2:SCRATCH_EN: 0
; COMPUTE_PGM_RSRC2:USER_SGPR: 6
; COMPUTE_PGM_RSRC2:TRAP_HANDLER: 0
; COMPUTE_PGM_RSRC2:TGID_X_EN: 1
; COMPUTE_PGM_RSRC2:TGID_Y_EN: 1
; COMPUTE_PGM_RSRC2:TGID_Z_EN: 1
; COMPUTE_PGM_RSRC2:TIDIG_COMP_CNT: 0
	.section	.text._ZL16dequantize_blockILi32ELi1EXadL_ZL15dequantize_q8_0PKvliR15HIP_vector_typeIfLj2EEEEfEvS1_PT2_lllS2_IjLj3EElll,"axG",@progbits,_ZL16dequantize_blockILi32ELi1EXadL_ZL15dequantize_q8_0PKvliR15HIP_vector_typeIfLj2EEEEfEvS1_PT2_lllS2_IjLj3EElll,comdat
	.globl	_ZL16dequantize_blockILi32ELi1EXadL_ZL15dequantize_q8_0PKvliR15HIP_vector_typeIfLj2EEEEfEvS1_PT2_lllS2_IjLj3EElll ; -- Begin function _ZL16dequantize_blockILi32ELi1EXadL_ZL15dequantize_q8_0PKvliR15HIP_vector_typeIfLj2EEEEfEvS1_PT2_lllS2_IjLj3EElll
	.p2align	8
	.type	_ZL16dequantize_blockILi32ELi1EXadL_ZL15dequantize_q8_0PKvliR15HIP_vector_typeIfLj2EEEEfEvS1_PT2_lllS2_IjLj3EElll,@function
_ZL16dequantize_blockILi32ELi1EXadL_ZL15dequantize_q8_0PKvliR15HIP_vector_typeIfLj2EEEEfEvS1_PT2_lllS2_IjLj3EElll: ; @_ZL16dequantize_blockILi32ELi1EXadL_ZL15dequantize_q8_0PKvliR15HIP_vector_typeIfLj2EEEEfEvS1_PT2_lllS2_IjLj3EElll
; %bb.0:
	s_load_dword s0, s[4:5], 0x5c
	s_load_dwordx4 s[20:23], s[4:5], 0x10
	s_add_u32 s28, s4, 0x50
	s_addc_u32 s29, s5, 0
	v_mov_b32_e32 v1, 0
	s_waitcnt lgkmcnt(0)
	s_and_b32 s1, s0, 0xffff
	v_mov_b32_e32 v2, s6
	v_mad_u64_u32 v[1:2], s[2:3], s1, v2, v[0:1]
	v_lshlrev_b64 v[3:4], 1, v[1:2]
	v_cmp_gt_i64_e32 vcc, s[20:21], v[3:4]
	s_and_saveexec_b64 s[2:3], vcc
	s_cbranch_execz .LBB60_7
; %bb.1:
	s_mov_b32 s10, s7
	s_load_dwordx2 s[30:31], s[4:5], 0x20
	s_mov_b32 s11, 0
	v_mov_b32_e32 v4, s10
	v_mov_b32_e32 v5, s11
	v_cmp_le_i64_e32 vcc, s[22:23], v[4:5]
	s_cbranch_vccnz .LBB60_7
; %bb.2:
	s_mul_i32 s1, s23, s8
	s_mul_hi_u32 s2, s22, s8
	s_add_i32 s2, s2, s1
	s_mul_i32 s1, s22, s8
	s_add_u32 s1, s1, s10
	s_addc_u32 s2, s2, 0
	v_lshrrev_b64 v[1:2], 4, v[1:2]
	s_mul_i32 s2, s20, s2
	s_mul_hi_u32 s3, s20, s1
	s_add_i32 s2, s3, s2
	s_mul_i32 s3, s21, s1
	v_and_b32_e32 v7, 30, v3
	s_add_i32 s3, s2, s3
	s_mul_i32 s2, s20, s1
	v_lshlrev_b64 v[3:4], 7, v[1:2]
	s_mul_i32 s6, s6, s0
	s_lshl_b64 s[2:3], s[2:3], 2
	v_add_u16_e32 v0, s6, v0
	v_mov_b32_e32 v8, s3
	v_add_co_u32_e32 v3, vcc, s2, v3
	v_and_b32_e32 v0, 15, v0
	s_load_dwordx4 s[24:27], s[4:5], 0x0
	s_load_dwordx8 s[12:19], s[4:5], 0x28
	s_load_dwordx2 s[34:35], s[4:5], 0x48
	s_load_dword s33, s[28:29], 0x4
	v_addc_co_u32_e32 v4, vcc, v8, v4, vcc
	v_lshlrev_b32_e32 v0, 3, v0
	v_add_co_u32_e32 v0, vcc, v3, v0
	v_addc_co_u32_e32 v3, vcc, 0, v4, vcc
	s_waitcnt lgkmcnt(0)
	v_mov_b32_e32 v4, s27
	v_add_co_u32_e32 v0, vcc, s26, v0
	v_addc_co_u32_e32 v4, vcc, v4, v3, vcc
	s_mov_b32 s9, s11
	v_mov_b32_e32 v5, s8
	v_add_co_u32_e32 v3, vcc, 4, v0
	s_mul_i32 s0, s21, s33
	s_mul_hi_u32 s1, s20, s33
	v_mov_b32_e32 v6, s9
	v_addc_co_u32_e32 v4, vcc, 0, v4, vcc
	s_add_i32 s1, s1, s0
	s_mul_i32 s0, s20, s33
	s_lshl_b64 s[4:5], s[0:1], 2
	s_mul_i32 s0, s22, s21
	s_mul_hi_u32 s1, s22, s20
	v_cmp_gt_i64_e32 vcc, s[30:31], v[5:6]
	s_add_i32 s0, s1, s0
	s_mul_i32 s1, s23, s20
	s_add_i32 s1, s0, s1
	s_mul_i32 s0, s22, s20
	v_cndmask_b32_e64 v0, 0, 1, vcc
	s_lshl_b64 s[6:7], s[0:1], 2
	s_sub_i32 s20, 0, s14
	v_cmp_ne_u32_e64 s[0:1], 1, v0
	v_mov_b32_e32 v0, s5
	s_branch .LBB60_4
.LBB60_3:                               ;   in Loop: Header=BB60_4 Depth=1
	s_add_u32 s10, s10, s33
	v_mov_b32_e32 v5, s22
	s_addc_u32 s11, s11, 0
	v_mov_b32_e32 v6, s23
	v_cmp_ge_i64_e32 vcc, s[10:11], v[5:6]
	v_add_co_u32_e64 v3, s[2:3], s4, v3
	v_addc_co_u32_e64 v4, s[2:3], v4, v0, s[2:3]
	s_cbranch_vccnz .LBB60_7
.LBB60_4:                               ; =>This Loop Header: Depth=1
                                        ;     Child Loop BB60_6 Depth 2
	s_and_b64 vcc, exec, s[0:1]
	s_cbranch_vccnz .LBB60_3
; %bb.5:                                ;   in Loop: Header=BB60_4 Depth=1
	s_load_dword s5, s[28:29], 0x8
	s_mul_i32 s2, s10, s17
	s_mul_hi_u32 s3, s10, s16
	s_add_i32 s2, s3, s2
	s_mul_i32 s3, s11, s16
	s_add_i32 s2, s2, s3
	s_mul_i32 s3, s10, s16
	s_waitcnt lgkmcnt(0)
	s_mul_i32 s14, s7, s5
	s_mul_hi_u32 s15, s6, s5
	s_mul_i32 s2, s2, 34
	s_mul_hi_u32 s27, s3, 34
	v_mov_b32_e32 v6, v4
	s_add_i32 s21, s15, s14
	s_mul_i32 s26, s6, s5
	s_add_i32 s27, s27, s2
	s_mul_i32 s36, s3, 34
	v_mov_b32_e32 v5, v3
	s_mov_b64 s[14:15], s[8:9]
.LBB60_6:                               ;   Parent Loop BB60_4 Depth=1
                                        ; =>  This Inner Loop Header: Depth=2
	s_mul_hi_u32 s2, s12, s14
	s_add_i32 s2, s14, s2
	s_lshr_b32 s2, s2, s13
	s_mul_i32 s3, s20, s2
	s_mul_i32 s37, s35, s2
	s_mul_hi_u32 s38, s34, s2
	s_mul_i32 s2, s34, s2
	s_add_i32 s3, s14, s3
	s_add_i32 s37, s38, s37
	s_mul_hi_u32 s38, s2, 34
	s_mul_i32 s39, s19, s3
	s_mul_hi_u32 s40, s18, s3
	s_mul_i32 s37, s37, 34
	s_mul_i32 s2, s2, 34
	;; [unrolled: 1-line block ×3, first 2 shown]
	s_add_i32 s39, s40, s39
	s_add_i32 s38, s38, s37
	s_mul_hi_u32 s37, s3, 34
	s_add_u32 s2, s24, s2
	s_mul_i32 s39, s39, 34
	s_mul_i32 s3, s3, 34
	s_addc_u32 s38, s25, s38
	s_add_i32 s37, s37, s39
	s_add_u32 s2, s2, s3
	s_addc_u32 s3, s38, s37
	s_add_u32 s2, s2, s36
	s_addc_u32 s3, s3, s27
	v_mad_u64_u32 v[8:9], s[2:3], v1, 34, s[2:3]
	s_add_u32 s14, s14, s5
	s_addc_u32 s15, s15, 0
	v_mad_u64_u32 v[10:11], s[2:3], v2, 34, v[9:10]
	v_add_co_u32_e32 v11, vcc, v8, v7
	v_mov_b32_e32 v9, v10
	v_addc_co_u32_e32 v12, vcc, 0, v10, vcc
	global_load_ushort v10, v[8:9], off
	global_load_ushort v13, v[11:12], off offset:2
	v_mov_b32_e32 v8, s30
	v_mov_b32_e32 v9, s31
	v_cmp_ge_i64_e32 vcc, s[14:15], v[8:9]
	v_mov_b32_e32 v11, s21
	s_and_b64 vcc, exec, vcc
	s_waitcnt vmcnt(1)
	v_cvt_f32_f16_e32 v9, v10
	s_waitcnt vmcnt(0)
	v_bfe_i32 v8, v13, 0, 8
	v_ashrrev_i16_e32 v10, 8, v13
	v_cvt_f32_i32_sdwa v8, sext(v8) dst_sel:DWORD dst_unused:UNUSED_PAD src0_sel:WORD_0
	v_cvt_f32_i32_sdwa v10, sext(v10) dst_sel:DWORD dst_unused:UNUSED_PAD src0_sel:WORD_0
	v_mul_f32_e32 v8, v9, v8
	v_mul_f32_e32 v9, v9, v10
	global_store_dwordx2 v[5:6], v[8:9], off offset:-4
	v_add_co_u32_e64 v5, s[2:3], s26, v5
	v_addc_co_u32_e64 v6, s[2:3], v6, v11, s[2:3]
	s_cbranch_vccz .LBB60_6
	s_branch .LBB60_3
.LBB60_7:
	s_endpgm
	.section	.rodata,"a",@progbits
	.p2align	6, 0x0
	.amdhsa_kernel _ZL16dequantize_blockILi32ELi1EXadL_ZL15dequantize_q8_0PKvliR15HIP_vector_typeIfLj2EEEEfEvS1_PT2_lllS2_IjLj3EElll
		.amdhsa_group_segment_fixed_size 0
		.amdhsa_private_segment_fixed_size 0
		.amdhsa_kernarg_size 336
		.amdhsa_user_sgpr_count 6
		.amdhsa_user_sgpr_private_segment_buffer 1
		.amdhsa_user_sgpr_dispatch_ptr 0
		.amdhsa_user_sgpr_queue_ptr 0
		.amdhsa_user_sgpr_kernarg_segment_ptr 1
		.amdhsa_user_sgpr_dispatch_id 0
		.amdhsa_user_sgpr_flat_scratch_init 0
		.amdhsa_user_sgpr_private_segment_size 0
		.amdhsa_uses_dynamic_stack 0
		.amdhsa_system_sgpr_private_segment_wavefront_offset 0
		.amdhsa_system_sgpr_workgroup_id_x 1
		.amdhsa_system_sgpr_workgroup_id_y 1
		.amdhsa_system_sgpr_workgroup_id_z 1
		.amdhsa_system_sgpr_workgroup_info 0
		.amdhsa_system_vgpr_workitem_id 0
		.amdhsa_next_free_vgpr 14
		.amdhsa_next_free_sgpr 41
		.amdhsa_reserve_vcc 1
		.amdhsa_reserve_flat_scratch 0
		.amdhsa_float_round_mode_32 0
		.amdhsa_float_round_mode_16_64 0
		.amdhsa_float_denorm_mode_32 3
		.amdhsa_float_denorm_mode_16_64 3
		.amdhsa_dx10_clamp 1
		.amdhsa_ieee_mode 1
		.amdhsa_fp16_overflow 0
		.amdhsa_exception_fp_ieee_invalid_op 0
		.amdhsa_exception_fp_denorm_src 0
		.amdhsa_exception_fp_ieee_div_zero 0
		.amdhsa_exception_fp_ieee_overflow 0
		.amdhsa_exception_fp_ieee_underflow 0
		.amdhsa_exception_fp_ieee_inexact 0
		.amdhsa_exception_int_div_zero 0
	.end_amdhsa_kernel
	.section	.text._ZL16dequantize_blockILi32ELi1EXadL_ZL15dequantize_q8_0PKvliR15HIP_vector_typeIfLj2EEEEfEvS1_PT2_lllS2_IjLj3EElll,"axG",@progbits,_ZL16dequantize_blockILi32ELi1EXadL_ZL15dequantize_q8_0PKvliR15HIP_vector_typeIfLj2EEEEfEvS1_PT2_lllS2_IjLj3EElll,comdat
.Lfunc_end60:
	.size	_ZL16dequantize_blockILi32ELi1EXadL_ZL15dequantize_q8_0PKvliR15HIP_vector_typeIfLj2EEEEfEvS1_PT2_lllS2_IjLj3EElll, .Lfunc_end60-_ZL16dequantize_blockILi32ELi1EXadL_ZL15dequantize_q8_0PKvliR15HIP_vector_typeIfLj2EEEEfEvS1_PT2_lllS2_IjLj3EElll
                                        ; -- End function
	.set _ZL16dequantize_blockILi32ELi1EXadL_ZL15dequantize_q8_0PKvliR15HIP_vector_typeIfLj2EEEEfEvS1_PT2_lllS2_IjLj3EElll.num_vgpr, 14
	.set _ZL16dequantize_blockILi32ELi1EXadL_ZL15dequantize_q8_0PKvliR15HIP_vector_typeIfLj2EEEEfEvS1_PT2_lllS2_IjLj3EElll.num_agpr, 0
	.set _ZL16dequantize_blockILi32ELi1EXadL_ZL15dequantize_q8_0PKvliR15HIP_vector_typeIfLj2EEEEfEvS1_PT2_lllS2_IjLj3EElll.numbered_sgpr, 41
	.set _ZL16dequantize_blockILi32ELi1EXadL_ZL15dequantize_q8_0PKvliR15HIP_vector_typeIfLj2EEEEfEvS1_PT2_lllS2_IjLj3EElll.num_named_barrier, 0
	.set _ZL16dequantize_blockILi32ELi1EXadL_ZL15dequantize_q8_0PKvliR15HIP_vector_typeIfLj2EEEEfEvS1_PT2_lllS2_IjLj3EElll.private_seg_size, 0
	.set _ZL16dequantize_blockILi32ELi1EXadL_ZL15dequantize_q8_0PKvliR15HIP_vector_typeIfLj2EEEEfEvS1_PT2_lllS2_IjLj3EElll.uses_vcc, 1
	.set _ZL16dequantize_blockILi32ELi1EXadL_ZL15dequantize_q8_0PKvliR15HIP_vector_typeIfLj2EEEEfEvS1_PT2_lllS2_IjLj3EElll.uses_flat_scratch, 0
	.set _ZL16dequantize_blockILi32ELi1EXadL_ZL15dequantize_q8_0PKvliR15HIP_vector_typeIfLj2EEEEfEvS1_PT2_lllS2_IjLj3EElll.has_dyn_sized_stack, 0
	.set _ZL16dequantize_blockILi32ELi1EXadL_ZL15dequantize_q8_0PKvliR15HIP_vector_typeIfLj2EEEEfEvS1_PT2_lllS2_IjLj3EElll.has_recursion, 0
	.set _ZL16dequantize_blockILi32ELi1EXadL_ZL15dequantize_q8_0PKvliR15HIP_vector_typeIfLj2EEEEfEvS1_PT2_lllS2_IjLj3EElll.has_indirect_call, 0
	.section	.AMDGPU.csdata,"",@progbits
; Kernel info:
; codeLenInByte = 756
; TotalNumSgprs: 45
; NumVgprs: 14
; ScratchSize: 0
; MemoryBound: 0
; FloatMode: 240
; IeeeMode: 1
; LDSByteSize: 0 bytes/workgroup (compile time only)
; SGPRBlocks: 5
; VGPRBlocks: 3
; NumSGPRsForWavesPerEU: 45
; NumVGPRsForWavesPerEU: 14
; Occupancy: 10
; WaveLimiterHint : 0
; COMPUTE_PGM_RSRC2:SCRATCH_EN: 0
; COMPUTE_PGM_RSRC2:USER_SGPR: 6
; COMPUTE_PGM_RSRC2:TRAP_HANDLER: 0
; COMPUTE_PGM_RSRC2:TGID_X_EN: 1
; COMPUTE_PGM_RSRC2:TGID_Y_EN: 1
; COMPUTE_PGM_RSRC2:TGID_Z_EN: 1
; COMPUTE_PGM_RSRC2:TIDIG_COMP_CNT: 0
	.section	.text._ZL13convert_unaryI14__hip_bfloat16fEvPKvPT0_lll15HIP_vector_typeIjLj3EElll,"axG",@progbits,_ZL13convert_unaryI14__hip_bfloat16fEvPKvPT0_lll15HIP_vector_typeIjLj3EElll,comdat
	.globl	_ZL13convert_unaryI14__hip_bfloat16fEvPKvPT0_lll15HIP_vector_typeIjLj3EElll ; -- Begin function _ZL13convert_unaryI14__hip_bfloat16fEvPKvPT0_lll15HIP_vector_typeIjLj3EElll
	.p2align	8
	.type	_ZL13convert_unaryI14__hip_bfloat16fEvPKvPT0_lll15HIP_vector_typeIjLj3EElll,@function
_ZL13convert_unaryI14__hip_bfloat16fEvPKvPT0_lll15HIP_vector_typeIjLj3EElll: ; @_ZL13convert_unaryI14__hip_bfloat16fEvPKvPT0_lll15HIP_vector_typeIjLj3EElll
; %bb.0:
	s_mov_b32 s10, s7
	s_load_dword s7, s[4:5], 0x5c
	s_load_dwordx4 s[0:3], s[4:5], 0x10
	s_add_u32 s24, s4, 0x50
	s_addc_u32 s25, s5, 0
	v_mov_b32_e32 v1, 0
	s_waitcnt lgkmcnt(0)
	s_and_b32 s7, s7, 0xffff
	v_mov_b32_e32 v2, s6
	v_mad_u64_u32 v[2:3], s[6:7], s7, v2, v[0:1]
	v_cmp_gt_i64_e32 vcc, s[0:1], v[2:3]
	s_and_saveexec_b64 s[6:7], vcc
	s_cbranch_execz .LBB61_7
; %bb.1:
	s_load_dwordx2 s[26:27], s[4:5], 0x20
	s_mov_b32 s11, 0
	v_mov_b32_e32 v0, s10
	v_mov_b32_e32 v1, s11
	v_cmp_le_i64_e32 vcc, s[2:3], v[0:1]
	s_cbranch_vccnz .LBB61_7
; %bb.2:
	s_load_dwordx4 s[20:23], s[4:5], 0x0
	s_load_dwordx8 s[12:19], s[4:5], 0x28
	s_load_dwordx2 s[6:7], s[4:5], 0x48
	s_mul_i32 s4, s3, s8
	s_mul_hi_u32 s5, s2, s8
	s_add_i32 s5, s5, s4
	s_mul_i32 s4, s2, s8
	s_add_u32 s4, s4, s10
	s_addc_u32 s5, s5, 0
	s_mul_i32 s5, s0, s5
	s_waitcnt lgkmcnt(0)
	s_mul_hi_u32 s15, s0, s4
	s_add_i32 s5, s15, s5
	s_mul_i32 s15, s1, s4
	s_add_i32 s5, s5, s15
	s_mul_i32 s4, s0, s4
	s_load_dword s28, s[24:25], 0x4
	s_lshl_b64 s[4:5], s[4:5], 2
	v_lshlrev_b64 v[0:1], 2, v[2:3]
	s_add_u32 s4, s22, s4
	s_addc_u32 s5, s23, s5
	s_mov_b32 s9, s11
	v_mov_b32_e32 v4, s8
	v_mov_b32_e32 v6, s5
	v_add_co_u32_e32 v0, vcc, s4, v0
	v_mov_b32_e32 v5, s9
	v_addc_co_u32_e32 v1, vcc, v6, v1, vcc
	s_waitcnt lgkmcnt(0)
	s_mul_i32 s4, s1, s28
	s_mul_i32 s1, s2, s1
	s_mul_hi_u32 s15, s2, s0
	v_cmp_gt_i64_e32 vcc, s[26:27], v[4:5]
	s_mul_hi_u32 s5, s0, s28
	s_add_i32 s1, s15, s1
	s_mul_i32 s15, s3, s0
	s_add_i32 s5, s5, s4
	s_mul_i32 s4, s0, s28
	;; [unrolled: 2-line block ×3, first 2 shown]
	v_cndmask_b32_e64 v4, 0, 1, vcc
	s_lshl_b64 s[4:5], s[4:5], 2
	s_lshl_b64 s[22:23], s[0:1], 2
	v_cmp_ne_u32_e64 s[0:1], 1, v4
	v_lshlrev_b64 v[2:3], 1, v[2:3]
	v_mov_b32_e32 v5, s3
	v_mov_b32_e32 v6, s26
	s_sub_i32 s29, 0, s14
	v_mov_b32_e32 v10, s5
	v_mov_b32_e32 v4, s2
	;; [unrolled: 1-line block ×3, first 2 shown]
	s_branch .LBB61_4
.LBB61_3:                               ;   in Loop: Header=BB61_4 Depth=1
	s_add_u32 s10, s10, s28
	s_addc_u32 s11, s11, 0
	v_cmp_ge_i64_e32 vcc, s[10:11], v[4:5]
	v_add_co_u32_e64 v0, s[2:3], s4, v0
	v_addc_co_u32_e64 v1, s[2:3], v1, v10, s[2:3]
	s_cbranch_vccnz .LBB61_7
.LBB61_4:                               ; =>This Loop Header: Depth=1
                                        ;     Child Loop BB61_6 Depth 2
	s_and_b64 vcc, exec, s[0:1]
	s_cbranch_vccnz .LBB61_3
; %bb.5:                                ;   in Loop: Header=BB61_4 Depth=1
	s_load_dword s5, s[24:25], 0x8
	s_mul_i32 s2, s10, s17
	s_mul_hi_u32 s3, s10, s16
	s_add_i32 s2, s3, s2
	s_mul_i32 s3, s11, s16
	s_waitcnt lgkmcnt(0)
	s_mul_i32 s14, s23, s5
	s_mul_hi_u32 s15, s22, s5
	s_add_i32 s3, s2, s3
	s_mul_i32 s2, s10, s16
	s_add_i32 s26, s15, s14
	v_mov_b32_e32 v9, v1
	s_mul_i32 s30, s22, s5
	s_lshl_b64 s[14:15], s[2:3], 1
	v_mov_b32_e32 v11, s26
	v_mov_b32_e32 v8, v0
	s_mov_b64 s[26:27], s[8:9]
.LBB61_6:                               ;   Parent Loop BB61_4 Depth=1
                                        ; =>  This Inner Loop Header: Depth=2
	s_mul_hi_u32 s2, s12, s26
	s_add_i32 s2, s26, s2
	s_lshr_b32 s2, s2, s13
	s_mul_i32 s3, s29, s2
	s_mul_i32 s31, s7, s2
	s_mul_hi_u32 s33, s6, s2
	s_add_i32 s34, s26, s3
	s_mul_i32 s2, s6, s2
	s_add_i32 s3, s33, s31
	s_mul_i32 s31, s19, s34
	s_mul_hi_u32 s33, s18, s34
	s_lshl_b64 s[2:3], s[2:3], 1
	s_add_i32 s35, s33, s31
	s_mul_i32 s34, s18, s34
	s_add_u32 s31, s20, s2
	s_addc_u32 s33, s21, s3
	s_lshl_b64 s[2:3], s[34:35], 1
	s_add_u32 s2, s31, s2
	s_addc_u32 s3, s33, s3
	s_add_u32 s2, s2, s14
	s_addc_u32 s3, s3, s15
	v_mov_b32_e32 v13, s3
	v_add_co_u32_e32 v12, vcc, s2, v2
	v_addc_co_u32_e32 v13, vcc, v13, v3, vcc
	global_load_ushort v12, v[12:13], off
	s_add_u32 s26, s26, s5
	s_addc_u32 s27, s27, 0
	v_cmp_ge_i64_e32 vcc, s[26:27], v[6:7]
	s_and_b64 vcc, exec, vcc
	s_waitcnt vmcnt(0)
	v_lshlrev_b32_e32 v12, 16, v12
	global_store_dword v[8:9], v12, off
	v_add_co_u32_e64 v8, s[2:3], s30, v8
	v_addc_co_u32_e64 v9, s[2:3], v9, v11, s[2:3]
	s_cbranch_vccz .LBB61_6
	s_branch .LBB61_3
.LBB61_7:
	s_endpgm
	.section	.rodata,"a",@progbits
	.p2align	6, 0x0
	.amdhsa_kernel _ZL13convert_unaryI14__hip_bfloat16fEvPKvPT0_lll15HIP_vector_typeIjLj3EElll
		.amdhsa_group_segment_fixed_size 0
		.amdhsa_private_segment_fixed_size 0
		.amdhsa_kernarg_size 336
		.amdhsa_user_sgpr_count 6
		.amdhsa_user_sgpr_private_segment_buffer 1
		.amdhsa_user_sgpr_dispatch_ptr 0
		.amdhsa_user_sgpr_queue_ptr 0
		.amdhsa_user_sgpr_kernarg_segment_ptr 1
		.amdhsa_user_sgpr_dispatch_id 0
		.amdhsa_user_sgpr_flat_scratch_init 0
		.amdhsa_user_sgpr_private_segment_size 0
		.amdhsa_uses_dynamic_stack 0
		.amdhsa_system_sgpr_private_segment_wavefront_offset 0
		.amdhsa_system_sgpr_workgroup_id_x 1
		.amdhsa_system_sgpr_workgroup_id_y 1
		.amdhsa_system_sgpr_workgroup_id_z 1
		.amdhsa_system_sgpr_workgroup_info 0
		.amdhsa_system_vgpr_workitem_id 0
		.amdhsa_next_free_vgpr 14
		.amdhsa_next_free_sgpr 36
		.amdhsa_reserve_vcc 1
		.amdhsa_reserve_flat_scratch 0
		.amdhsa_float_round_mode_32 0
		.amdhsa_float_round_mode_16_64 0
		.amdhsa_float_denorm_mode_32 3
		.amdhsa_float_denorm_mode_16_64 3
		.amdhsa_dx10_clamp 1
		.amdhsa_ieee_mode 1
		.amdhsa_fp16_overflow 0
		.amdhsa_exception_fp_ieee_invalid_op 0
		.amdhsa_exception_fp_denorm_src 0
		.amdhsa_exception_fp_ieee_div_zero 0
		.amdhsa_exception_fp_ieee_overflow 0
		.amdhsa_exception_fp_ieee_underflow 0
		.amdhsa_exception_fp_ieee_inexact 0
		.amdhsa_exception_int_div_zero 0
	.end_amdhsa_kernel
	.section	.text._ZL13convert_unaryI14__hip_bfloat16fEvPKvPT0_lll15HIP_vector_typeIjLj3EElll,"axG",@progbits,_ZL13convert_unaryI14__hip_bfloat16fEvPKvPT0_lll15HIP_vector_typeIjLj3EElll,comdat
.Lfunc_end61:
	.size	_ZL13convert_unaryI14__hip_bfloat16fEvPKvPT0_lll15HIP_vector_typeIjLj3EElll, .Lfunc_end61-_ZL13convert_unaryI14__hip_bfloat16fEvPKvPT0_lll15HIP_vector_typeIjLj3EElll
                                        ; -- End function
	.set _ZL13convert_unaryI14__hip_bfloat16fEvPKvPT0_lll15HIP_vector_typeIjLj3EElll.num_vgpr, 14
	.set _ZL13convert_unaryI14__hip_bfloat16fEvPKvPT0_lll15HIP_vector_typeIjLj3EElll.num_agpr, 0
	.set _ZL13convert_unaryI14__hip_bfloat16fEvPKvPT0_lll15HIP_vector_typeIjLj3EElll.numbered_sgpr, 36
	.set _ZL13convert_unaryI14__hip_bfloat16fEvPKvPT0_lll15HIP_vector_typeIjLj3EElll.num_named_barrier, 0
	.set _ZL13convert_unaryI14__hip_bfloat16fEvPKvPT0_lll15HIP_vector_typeIjLj3EElll.private_seg_size, 0
	.set _ZL13convert_unaryI14__hip_bfloat16fEvPKvPT0_lll15HIP_vector_typeIjLj3EElll.uses_vcc, 1
	.set _ZL13convert_unaryI14__hip_bfloat16fEvPKvPT0_lll15HIP_vector_typeIjLj3EElll.uses_flat_scratch, 0
	.set _ZL13convert_unaryI14__hip_bfloat16fEvPKvPT0_lll15HIP_vector_typeIjLj3EElll.has_dyn_sized_stack, 0
	.set _ZL13convert_unaryI14__hip_bfloat16fEvPKvPT0_lll15HIP_vector_typeIjLj3EElll.has_recursion, 0
	.set _ZL13convert_unaryI14__hip_bfloat16fEvPKvPT0_lll15HIP_vector_typeIjLj3EElll.has_indirect_call, 0
	.section	.AMDGPU.csdata,"",@progbits
; Kernel info:
; codeLenInByte = 612
; TotalNumSgprs: 40
; NumVgprs: 14
; ScratchSize: 0
; MemoryBound: 0
; FloatMode: 240
; IeeeMode: 1
; LDSByteSize: 0 bytes/workgroup (compile time only)
; SGPRBlocks: 4
; VGPRBlocks: 3
; NumSGPRsForWavesPerEU: 40
; NumVGPRsForWavesPerEU: 14
; Occupancy: 10
; WaveLimiterHint : 0
; COMPUTE_PGM_RSRC2:SCRATCH_EN: 0
; COMPUTE_PGM_RSRC2:USER_SGPR: 6
; COMPUTE_PGM_RSRC2:TRAP_HANDLER: 0
; COMPUTE_PGM_RSRC2:TGID_X_EN: 1
; COMPUTE_PGM_RSRC2:TGID_Y_EN: 1
; COMPUTE_PGM_RSRC2:TGID_Z_EN: 1
; COMPUTE_PGM_RSRC2:TIDIG_COMP_CNT: 0
	.section	.AMDGPU.gpr_maximums,"",@progbits
	.set amdgpu.max_num_vgpr, 0
	.set amdgpu.max_num_agpr, 0
	.set amdgpu.max_num_sgpr, 0
	.section	.AMDGPU.csdata,"",@progbits
	.type	_ZL11iq2xxs_grid,@object        ; @_ZL11iq2xxs_grid
	.section	.rodata,"a",@progbits
	.p2align	4, 0x0
_ZL11iq2xxs_grid:
	.quad	578721382704613384              ; 0x808080808080808
	.quad	578721382704613419              ; 0x80808080808082b
	;; [unrolled: 1-line block ×132, first 2 shown]
	.quad	1803700481349388313             ; 0x1908080808080819
	.quad	1803700481349392648             ; 0x1908080808081908
	;; [unrolled: 1-line block ×124, first 2 shown]
	.size	_ZL11iq2xxs_grid, 2048

	.type	_ZL12ksigns_iq2xs,@object       ; @_ZL12ksigns_iq2xs
	.p2align	4, 0x0
_ZL12ksigns_iq2xs:
	.ascii	"\000\201\202\003\204\005\006\207\210\t\n\213\f\215\216\017\220\021\022\223\024\225\226\027\030\231\232\033\234\035\036\237\240!\"\243$\245\246'(\251\252+\254-.\2570\261\2623\26456\267\2709:\273<\275\276?\300AB\303D\305\306GH\311\312K\314MN\317P\321\322S\324UV\327\330YZ\333\\\335\336_`\341\342c\344ef\347\350ij\353l\355\356o\360qr\363t\365\366wx\371\372{\374}~\377"
	.size	_ZL12ksigns_iq2xs, 128

	.type	_ZL10iq2xs_grid,@object         ; @_ZL10iq2xs_grid
	.p2align	4, 0x0
_ZL10iq2xs_grid:
	.quad	578721382704613384              ; 0x808080808080808
	.quad	578721382704613419              ; 0x80808080808082b
	;; [unrolled: 1-line block ×254, first 2 shown]
	.quad	1803700481349388313             ; 0x1908080808080819
	.quad	1803700481349392648             ; 0x1908080808081908
	;; [unrolled: 1-line block ×258, first 2 shown]
	.size	_ZL10iq2xs_grid, 4096

	.type	_ZL9iq2s_grid,@object           ; @_ZL9iq2s_grid
	.p2align	4, 0x0
_ZL9iq2s_grid:
	.quad	578721382704613384              ; 0x808080808080808
	.quad	578721382704613419              ; 0x80808080808082b
	;; [unrolled: 1-line block ×471, first 2 shown]
	.quad	1803700481349388313             ; 0x1908080808080819
	.quad	1803700481349392648             ; 0x1908080808081908
	;; [unrolled: 1-line block ×553, first 2 shown]
	.size	_ZL9iq2s_grid, 8192

	.type	_ZL11iq3xxs_grid,@object        ; @_ZL11iq3xxs_grid
	.p2align	4, 0x0
_ZL11iq3xxs_grid:
	.long	67372036                        ; 0x4040404
	.long	67372052                        ; 0x4040414
	;; [unrolled: 1-line block ×58, first 2 shown]
	.long	201589772                       ; 0xc04040c
	.long	201589788                       ; 0xc04041c
	;; [unrolled: 1-line block ×177, first 2 shown]
	.long	1040450588                      ; 0x3e04041c
	.long	1040450604                      ; 0x3e04042c
	;; [unrolled: 1-line block ×21, first 2 shown]
	.size	_ZL11iq3xxs_grid, 1024

	.type	_ZL13iq1s_grid_gpu,@object      ; @_ZL13iq1s_grid_gpu
	.p2align	4, 0x0
_ZL13iq1s_grid_gpu:
	.long	0                               ; 0x0
	.long	2                               ; 0x2
	.long	257                             ; 0x101
	.long	512                             ; 0x200
	;; [unrolled: 1-line block ×3, first 2 shown]
	.long	65537                           ; 0x10001
	.long	65793                           ; 0x10101
	.long	131072                          ; 0x20000
	.long	131074                          ; 0x20002
	;; [unrolled: 1-line block ×4, first 2 shown]
	.long	16777473                        ; 0x1000101
	.long	16842753                        ; 0x1010001
	;; [unrolled: 1-line block ×14, first 2 shown]
	.long	272                             ; 0x110
	.long	273                             ; 0x111
	.long	65553                           ; 0x10011
	.long	65808                           ; 0x10110
	;; [unrolled: 1-line block ×5, first 2 shown]
	.long	131345                          ; 0x20111
	.long	16777233                        ; 0x1000011
	.long	16777490                        ; 0x1000112
	;; [unrolled: 1-line block ×15, first 2 shown]
	.long	32                              ; 0x20
	.long	34                              ; 0x22
	.long	544                             ; 0x220
	.long	546                             ; 0x222
	.long	65825                           ; 0x10121
	.long	131104                          ; 0x20020
	.long	131106                          ; 0x20022
	;; [unrolled: 1-line block ×4, first 2 shown]
	.long	16777505                        ; 0x1000121
	.long	16842785                        ; 0x1010021
	;; [unrolled: 1-line block ×16, first 2 shown]
	.long	69633                           ; 0x11001
	.long	69888                           ; 0x11100
	;; [unrolled: 1-line block ×3, first 2 shown]
	.long	135425                          ; 0x21101
	.long	16781313                        ; 0x1001001
	.long	16781825                        ; 0x1001201
	;; [unrolled: 1-line block ×9, first 2 shown]
	.long	4113                            ; 0x1011
	.long	4368                            ; 0x1110
	;; [unrolled: 1-line block ×4, first 2 shown]
	.long	69905                           ; 0x11111
	.long	70160                           ; 0x11210
	;; [unrolled: 1-line block ×3, first 2 shown]
	.long	135697                          ; 0x21211
	.long	16781328                        ; 0x1001010
	.long	16781585                        ; 0x1001111
	;; [unrolled: 1-line block ×24, first 2 shown]
	.long	69920                           ; 0x11120
	.long	70177                           ; 0x11221
	.long	16781345                        ; 0x1001021
	.long	16781600                        ; 0x1001120
	;; [unrolled: 1-line block ×14, first 2 shown]
	.long	8192                            ; 0x2000
	.long	8194                            ; 0x2002
	;; [unrolled: 1-line block ×4, first 2 shown]
	.long	73985                           ; 0x12101
	.long	139264                          ; 0x22000
	.long	139266                          ; 0x22002
	;; [unrolled: 1-line block ×4, first 2 shown]
	.long	16785665                        ; 0x1002101
	.long	16850945                        ; 0x1012001
	;; [unrolled: 1-line block ×13, first 2 shown]
	.long	8465                            ; 0x2111
	.long	73745                           ; 0x12011
	.long	74000                           ; 0x12110
	;; [unrolled: 1-line block ×3, first 2 shown]
	.long	139536                          ; 0x22110
	.long	139537                          ; 0x22111
	.long	16785425                        ; 0x1002011
	.long	16850960                        ; 0x1012010
	;; [unrolled: 1-line block ×12, first 2 shown]
	.long	8224                            ; 0x2020
	.long	8226                            ; 0x2022
	;; [unrolled: 1-line block ×4, first 2 shown]
	.long	74017                           ; 0x12121
	.long	139296                          ; 0x22020
	.long	139298                          ; 0x22022
	;; [unrolled: 1-line block ×4, first 2 shown]
	.long	16785697                        ; 0x1002121
	.long	16850977                        ; 0x1012021
	;; [unrolled: 1-line block ×15, first 2 shown]
	.long	1114112                         ; 0x110000
	.long	1114113                         ; 0x110001
	;; [unrolled: 1-line block ×6, first 2 shown]
	.long	17825793                        ; 0x1100001
	.long	17826048                        ; 0x1100100
	;; [unrolled: 1-line block ×14, first 2 shown]
	.long	1048593                         ; 0x100011
	.long	1048848                         ; 0x100110
	;; [unrolled: 1-line block ×11, first 2 shown]
	.long	17826065                        ; 0x1100111
	.long	17826322                        ; 0x1100212
	.long	17891344                        ; 0x1110010
	.long	17891345                        ; 0x1110011
	.long	17891346                        ; 0x1110012
	.long	17891600                        ; 0x1110110
	.long	17891601                        ; 0x1110111
	.long	17891602                        ; 0x1110112
	.long	17891857                        ; 0x1110211
	.long	17956880                        ; 0x1120010
	.long	17957137                        ; 0x1120111
	.long	34603280                        ; 0x2100110
	.long	34668562                        ; 0x2110012
	.long	34668817                        ; 0x2110111
	.long	34734097                        ; 0x2120011
	.long	34734352                        ; 0x2120110
	.long	1114145                         ; 0x110021
	.long	1114400                         ; 0x110120
	;; [unrolled: 1-line block ×4, first 2 shown]
	.long	17825824                        ; 0x1100020
	.long	17826082                        ; 0x1100122
	;; [unrolled: 1-line block ×14, first 2 shown]
	.long	1052673                         ; 0x101001
	.long	1052930                         ; 0x101102
	;; [unrolled: 1-line block ×9, first 2 shown]
	.long	17829889                        ; 0x1101001
	.long	17830145                        ; 0x1101101
	;; [unrolled: 1-line block ×25, first 2 shown]
	.long	1052690                         ; 0x101012
	.long	1052945                         ; 0x101111
	;; [unrolled: 1-line block ×13, first 2 shown]
	.long	17829905                        ; 0x1101011
	.long	17830160                        ; 0x1101110
	.long	17830161                        ; 0x1101111
	.long	17830162                        ; 0x1101112
	.long	17895441                        ; 0x1111011
	.long	17895442                        ; 0x1111012
	.long	17895696                        ; 0x1111110
	.long	17895697                        ; 0x1111111
	.long	17895698                        ; 0x1111112
	.long	17895953                        ; 0x1111211
	.long	17895954                        ; 0x1111212
	.long	17960977                        ; 0x1121011
	.long	17961232                        ; 0x1121110
	.long	17961233                        ; 0x1121111
	.long	17961234                        ; 0x1121112
	.long	17961489                        ; 0x1121211
	.long	34607120                        ; 0x2101010
	.long	34607122                        ; 0x2101012
	.long	34607376                        ; 0x2101110
	.long	34607377                        ; 0x2101111
	.long	34607632                        ; 0x2101210
	.long	34607634                        ; 0x2101212
	.long	34672656                        ; 0x2111010
	.long	34672657                        ; 0x2111011
	.long	34672912                        ; 0x2111110
	.long	34672913                        ; 0x2111111
	.long	34672914                        ; 0x2111112
	.long	34673169                        ; 0x2111211
	.long	34673170                        ; 0x2111212
	.long	34738192                        ; 0x2121010
	.long	34738194                        ; 0x2121012
	.long	34738449                        ; 0x2121111
	.long	1052705                         ; 0x101021
	.long	1052960                         ; 0x101120
	;; [unrolled: 1-line block ×10, first 2 shown]
	.long	17829920                        ; 0x1101020
	.long	17829922                        ; 0x1101022
	;; [unrolled: 1-line block ×23, first 2 shown]
	.long	1122305                         ; 0x112001
	.long	1122562                         ; 0x112102
	;; [unrolled: 1-line block ×3, first 2 shown]
	.long	17833985                        ; 0x1102001
	.long	17834240                        ; 0x1102100
	;; [unrolled: 1-line block ×17, first 2 shown]
	.long	1122320                         ; 0x112010
	.long	1122322                         ; 0x112012
	.long	1122577                         ; 0x112111
	.long	1122834                         ; 0x112212
	.long	1187857                         ; 0x122011
	.long	1188113                         ; 0x122111
	.long	17834002                        ; 0x1102012
	.long	17834256                        ; 0x1102110
	.long	17834257                        ; 0x1102111
	.long	17834512                        ; 0x1102210
	.long	17899537                        ; 0x1112011
	.long	17899792                        ; 0x1112110
	.long	17899793                        ; 0x1112111
	.long	17899794                        ; 0x1112112
	.long	17900049                        ; 0x1112211
	.long	17900050                        ; 0x1112212
	.long	17965072                        ; 0x1122010
	.long	17965329                        ; 0x1122111
	.long	17965586                        ; 0x1122212
	.long	34611729                        ; 0x2102211
	.long	34676753                        ; 0x2112011
	.long	34676754                        ; 0x2112012
	.long	34677009                        ; 0x2112111
	.long	34677264                        ; 0x2112210
	.long	34742289                        ; 0x2122011
	.long	34742546                        ; 0x2122112
	.long	34742801                        ; 0x2122211
	.long	1057313                         ; 0x102221
	.long	1122594                         ; 0x112122
	;; [unrolled: 1-line block ×4, first 2 shown]
	.long	17834272                        ; 0x1102120
	.long	17834274                        ; 0x1102122
	;; [unrolled: 1-line block ×14, first 2 shown]
	.long	2097152                         ; 0x200000
	.long	2097154                         ; 0x200002
	;; [unrolled: 1-line block ×10, first 2 shown]
	.long	18874625                        ; 0x1200101
	.long	18939905                        ; 0x1210001
	;; [unrolled: 1-line block ×15, first 2 shown]
	.long	2097425                         ; 0x200111
	.long	2162705                         ; 0x210011
	;; [unrolled: 1-line block ×5, first 2 shown]
	.long	18874386                        ; 0x1200012
	.long	18874640                        ; 0x1200110
	.long	18874897                        ; 0x1200211
	.long	18940177                        ; 0x1210111
	.long	18940432                        ; 0x1210210
	.long	18940434                        ; 0x1210212
	.long	19005457                        ; 0x1220011
	.long	19005712                        ; 0x1220110
	.long	19005713                        ; 0x1220111
	.long	19005714                        ; 0x1220112
	.long	35651857                        ; 0x2200111
	.long	35717136                        ; 0x2210010
	.long	35717394                        ; 0x2210112
	.long	35717649                        ; 0x2210211
	.long	35782929                        ; 0x2220111
	.long	2097185                         ; 0x200021
	.long	2097696                         ; 0x200220
	;; [unrolled: 1-line block ×9, first 2 shown]
	.long	18874657                        ; 0x1200121
	.long	18939937                        ; 0x1210021
	;; [unrolled: 1-line block ×14, first 2 shown]
	.long	2101505                         ; 0x201101
	.long	2167040                         ; 0x211100
	;; [unrolled: 1-line block ×5, first 2 shown]
	.long	18878720                        ; 0x1201100
	.long	18878721                        ; 0x1201101
	;; [unrolled: 1-line block ×15, first 2 shown]
	.long	2101777                         ; 0x201211
	.long	2167057                         ; 0x211111
	.long	2232337                         ; 0x221011
	.long	2232849                         ; 0x221211
	.long	18878480                        ; 0x1201010
	.long	18878737                        ; 0x1201111
	.long	18878992                        ; 0x1201210
	.long	18944017                        ; 0x1211011
	.long	18944272                        ; 0x1211110
	.long	18944273                        ; 0x1211111
	.long	18944529                        ; 0x1211211
	.long	19009554                        ; 0x1221012
	.long	19009809                        ; 0x1221111
	.long	19010064                        ; 0x1221210
	.long	35656209                        ; 0x2201211
	.long	35721232                        ; 0x2211010
	.long	35721488                        ; 0x2211110
	.long	35721489                        ; 0x2211111
	.long	35721744                        ; 0x2211210
	.long	35721746                        ; 0x2211212
	.long	35786769                        ; 0x2221011
	.long	35787024                        ; 0x2221110
	.long	35787026                        ; 0x2221112
	.long	35787281                        ; 0x2221211
	.long	2101537                         ; 0x201121
	.long	2166816                         ; 0x211020
	;; [unrolled: 1-line block ×5, first 2 shown]
	.long	18878497                        ; 0x1201021
	.long	18879009                        ; 0x1201221
	;; [unrolled: 1-line block ×10, first 2 shown]
	.long	2105344                         ; 0x202000
	.long	2105346                         ; 0x202002
	;; [unrolled: 1-line block ×9, first 2 shown]
	.long	18882817                        ; 0x1202101
	.long	18948097                        ; 0x1212001
	;; [unrolled: 1-line block ×12, first 2 shown]
	.long	2105873                         ; 0x202211
	.long	2170897                         ; 0x212011
	;; [unrolled: 1-line block ×5, first 2 shown]
	.long	18882834                        ; 0x1202112
	.long	18883089                        ; 0x1202211
	;; [unrolled: 1-line block ×14, first 2 shown]
	.long	2105376                         ; 0x202020
	.long	2105378                         ; 0x202022
	;; [unrolled: 1-line block ×8, first 2 shown]
	.long	18882849                        ; 0x1202121
	.long	18948129                        ; 0x1212021
	;; [unrolled: 1-line block ×14, first 2 shown]
	.long	268435713                       ; 0x10000101
	.long	268500993                       ; 0x10010001
	.long	268501250                       ; 0x10010102
	.long	268566785                       ; 0x10020101
	.long	285213185                       ; 0x11000201
	.long	285278210                       ; 0x11010002
	.long	285278465                       ; 0x11010101
	.long	285278720                       ; 0x11010200
	.long	285278722                       ; 0x11010202
	.long	285343745                       ; 0x11020001
	.long	285344000                       ; 0x11020100
	.long	285344002                       ; 0x11020102
	.long	302055680                       ; 0x12010100
	.long	302055937                       ; 0x12010201
	.long	302120961                       ; 0x12020001
	.long	302121218                       ; 0x12020102
	.long	268435472                       ; 0x10000010
	.long	268435473                       ; 0x10000011
	.long	268435728                       ; 0x10000110
	.long	268435730                       ; 0x10000112
	.long	268435985                       ; 0x10000211
	.long	268501010                       ; 0x10010012
	.long	268501265                       ; 0x10010111
	.long	268501266                       ; 0x10010112
	.long	268501520                       ; 0x10010210
	.long	268501522                       ; 0x10010212
	.long	268566545                       ; 0x10020011
	.long	268566802                       ; 0x10020112
	.long	268567057                       ; 0x10020211
	.long	285212945                       ; 0x11000111
	.long	285213200                       ; 0x11000210
	.long	285213202                       ; 0x11000212
	.long	285278225                       ; 0x11010011
	.long	285278480                       ; 0x11010110
	.long	285278481                       ; 0x11010111
	.long	285278482                       ; 0x11010112
	.long	285278737                       ; 0x11010211
	.long	285278738                       ; 0x11010212
	.long	285344017                       ; 0x11020111
	.long	285344272                       ; 0x11020210
	.long	285344274                       ; 0x11020212
	.long	301989905                       ; 0x12000011
	.long	301990160                       ; 0x12000110
	.long	301990162                       ; 0x12000112
	.long	302055440                       ; 0x12010010
	.long	302055442                       ; 0x12010012
	.long	302055697                       ; 0x12010111
	.long	302120976                       ; 0x12020010
	.long	302120977                       ; 0x12020011
	.long	302120978                       ; 0x12020012
	.long	268435745                       ; 0x10000121
	.long	268501025                       ; 0x10010021
	.long	268501280                       ; 0x10010120
	.long	268501282                       ; 0x10010122
	.long	268566817                       ; 0x10020121
	.long	285212705                       ; 0x11000021
	.long	285278242                       ; 0x11010022
	.long	285278497                       ; 0x11010121
	.long	285278754                       ; 0x11010222
	.long	285344032                       ; 0x11020120
	.long	285344289                       ; 0x11020221
	.long	301990433                       ; 0x12000221
	.long	302055712                       ; 0x12010120
	.long	302121249                       ; 0x12020121
	.long	268439553                       ; 0x10001001
	.long	268505345                       ; 0x10011101
	.long	268505601                       ; 0x10011201
	.long	268571137                       ; 0x10021201
	.long	285217025                       ; 0x11001101
	.long	285217280                       ; 0x11001200
	.long	285217282                       ; 0x11001202
	.long	285282305                       ; 0x11011001
	.long	285282560                       ; 0x11011100
	.long	285282561                       ; 0x11011101
	.long	285282562                       ; 0x11011102
	.long	285347841                       ; 0x11021001
	.long	285347842                       ; 0x11021002
	.long	285348097                       ; 0x11021101
	.long	285348352                       ; 0x11021200
	.long	285348354                       ; 0x11021202
	.long	301993985                       ; 0x12001001
	.long	301994242                       ; 0x12001102
	.long	301994497                       ; 0x12001201
	.long	302059520                       ; 0x12011000
	.long	302059522                       ; 0x12011002
	.long	302059777                       ; 0x12011101
	.long	302125056                       ; 0x12021000
	.long	302125057                       ; 0x12021001
	.long	302125569                       ; 0x12021201
	.long	268439569                       ; 0x10001011
	.long	268439570                       ; 0x10001012
	.long	268439825                       ; 0x10001111
	.long	268440082                       ; 0x10001212
	.long	268505105                       ; 0x10011011
	.long	268505360                       ; 0x10011110
	.long	268505361                       ; 0x10011111
	.long	268505362                       ; 0x10011112
	.long	268505617                       ; 0x10011211
	.long	268570640                       ; 0x10021010
	.long	268570897                       ; 0x10021111
	.long	268571154                       ; 0x10021212
	.long	285216785                       ; 0x11001011
	.long	285217040                       ; 0x11001110
	.long	285217041                       ; 0x11001111
	.long	285217042                       ; 0x11001112
	.long	285217297                       ; 0x11001211
	.long	285282320                       ; 0x11011010
	.long	285282321                       ; 0x11011011
	.long	285282576                       ; 0x11011110
	.long	285282577                       ; 0x11011111
	.long	285282578                       ; 0x11011112
	.long	285282832                       ; 0x11011210
	.long	285282833                       ; 0x11011211
	.long	285347857                       ; 0x11021011
	.long	285348112                       ; 0x11021110
	.long	285348113                       ; 0x11021111
	.long	285348114                       ; 0x11021112
	.long	285348369                       ; 0x11021211
	.long	301994002                       ; 0x12001012
	.long	301994256                       ; 0x12001110
	.long	301994257                       ; 0x12001111
	.long	301994512                       ; 0x12001210
	.long	302059537                       ; 0x12011011
	.long	302059792                       ; 0x12011110
	.long	302059793                       ; 0x12011111
	.long	302059794                       ; 0x12011112
	.long	302060049                       ; 0x12011211
	.long	302060050                       ; 0x12011212
	.long	302125329                       ; 0x12021111
	.long	302125584                       ; 0x12021210
	.long	302125586                       ; 0x12021212
	.long	268439585                       ; 0x10001021
	.long	268439841                       ; 0x10001121
	.long	268440097                       ; 0x10001221
	.long	268505376                       ; 0x10011120
	.long	268505377                       ; 0x10011121
	.long	268505632                       ; 0x10011220
	.long	268505634                       ; 0x10011222
	.long	268570657                       ; 0x10021021
	.long	268570912                       ; 0x10021120
	.long	268571169                       ; 0x10021221
	.long	285216800                       ; 0x11001020
	.long	285216802                       ; 0x11001022
	.long	285217057                       ; 0x11001121
	.long	285217312                       ; 0x11001220
	.long	285282336                       ; 0x11011020
	.long	285282337                       ; 0x11011021
	.long	285282338                       ; 0x11011022
	.long	285282593                       ; 0x11011121
	.long	285282594                       ; 0x11011122
	.long	285282849                       ; 0x11011221
	.long	285347874                       ; 0x11021022
	.long	285348129                       ; 0x11021121
	.long	285348384                       ; 0x11021220
	.long	301994017                       ; 0x12001021
	.long	301994273                       ; 0x12001121
	.long	301994530                       ; 0x12001222
	.long	302059808                       ; 0x12011120
	.long	302059809                       ; 0x12011121
	.long	302125089                       ; 0x12021021
	.long	302125344                       ; 0x12021120
	.long	302125346                       ; 0x12021122
	.long	268443905                       ; 0x10002101
	.long	268509185                       ; 0x10012001
	.long	268509441                       ; 0x10012101
	.long	268509698                       ; 0x10012202
	.long	268574977                       ; 0x10022101
	.long	285220866                       ; 0x11002002
	.long	285221377                       ; 0x11002201
	.long	285286400                       ; 0x11012000
	.long	285286657                       ; 0x11012101
	.long	285286912                       ; 0x11012200
	.long	285351937                       ; 0x11022001
	.long	285352192                       ; 0x11022100
	.long	285352194                       ; 0x11022102
	.long	285352449                       ; 0x11022201
	.long	301998337                       ; 0x12002101
	.long	302063617                       ; 0x12012001
	.long	302063872                       ; 0x12012100
	.long	302063874                       ; 0x12012102
	.long	302064129                       ; 0x12012201
	.long	302129409                       ; 0x12022101
	.long	268443665                       ; 0x10002011
	.long	268443921                       ; 0x10002111
	.long	268443922                       ; 0x10002112
	.long	268444178                       ; 0x10002212
	.long	268509200                       ; 0x10012010
	.long	268509456                       ; 0x10012110
	.long	268509457                       ; 0x10012111
	.long	268509712                       ; 0x10012210
	.long	268574737                       ; 0x10022011
	.long	268574992                       ; 0x10022110
	.long	268574994                       ; 0x10022112
	.long	285220880                       ; 0x11002010
	.long	285221137                       ; 0x11002111
	.long	285221394                       ; 0x11002212
	.long	285286417                       ; 0x11012011
	.long	285286418                       ; 0x11012012
	.long	285286672                       ; 0x11012110
	.long	285286673                       ; 0x11012111
	.long	285286674                       ; 0x11012112
	.long	285286929                       ; 0x11012211
	.long	285351952                       ; 0x11022010
	.long	285351954                       ; 0x11022012
	.long	285352209                       ; 0x11022111
	.long	285352210                       ; 0x11022112
	.long	285352466                       ; 0x11022212
	.long	301998354                       ; 0x12002112
	.long	301998609                       ; 0x12002211
	.long	302063634                       ; 0x12012012
	.long	302063889                       ; 0x12012111
	.long	302063890                       ; 0x12012112
	.long	302064144                       ; 0x12012210
	.long	302129169                       ; 0x12022011
	.long	302129424                       ; 0x12022110
	.long	302129426                       ; 0x12022112
	.long	302129681                       ; 0x12022211
	.long	268509474                       ; 0x10012122
	.long	285221152                       ; 0x11002120
	.long	285221154                       ; 0x11002122
	.long	285221409                       ; 0x11002221
	.long	285286689                       ; 0x11012121
	.long	285286944                       ; 0x11012220
	.long	285286946                       ; 0x11012222
	.long	285352224                       ; 0x11022120
	.long	285352481                       ; 0x11022221
	.long	302063904                       ; 0x12012120
	.long	302129441                       ; 0x12022121
	.long	269484033                       ; 0x10100001
	.long	269484288                       ; 0x10100100
	.long	269484289                       ; 0x10100101
	.long	269484290                       ; 0x10100102
	.long	269484545                       ; 0x10100201
	.long	269549570                       ; 0x10110002
	.long	269549825                       ; 0x10110101
	.long	269550082                       ; 0x10110202
	.long	269615105                       ; 0x10120001
	.long	269615360                       ; 0x10120100
	.long	269615617                       ; 0x10120201
	.long	286261248                       ; 0x11100000
	.long	286261505                       ; 0x11100101
	.long	286261760                       ; 0x11100200
	.long	286326785                       ; 0x11110001
	.long	286327040                       ; 0x11110100
	.long	286327041                       ; 0x11110101
	.long	286327042                       ; 0x11110102
	.long	286327297                       ; 0x11110201
	.long	286392577                       ; 0x11120101
	.long	286392832                       ; 0x11120200
	.long	303038722                       ; 0x12100102
	.long	303038977                       ; 0x12100201
	.long	303104257                       ; 0x12110101
	.long	303104512                       ; 0x12110200
	.long	303169536                       ; 0x12120000
	.long	303169537                       ; 0x12120001
	.long	303169794                       ; 0x12120102
	.long	303170049                       ; 0x12120201
	.long	269484305                       ; 0x10100111
	.long	269484560                       ; 0x10100210
	.long	269484561                       ; 0x10100211
	.long	269484562                       ; 0x10100212
	.long	269549585                       ; 0x10110011
	.long	269549840                       ; 0x10110110
	.long	269549841                       ; 0x10110111
	.long	269549842                       ; 0x10110112
	.long	269550096                       ; 0x10110210
	.long	269550097                       ; 0x10110211
	.long	269615120                       ; 0x10120010
	.long	269615377                       ; 0x10120111
	.long	269615378                       ; 0x10120112
	.long	269615632                       ; 0x10120210
	.long	269615634                       ; 0x10120212
	.long	286261265                       ; 0x11100011
	.long	286261520                       ; 0x11100110
	.long	286261521                       ; 0x11100111
	.long	286261522                       ; 0x11100112
	.long	286261777                       ; 0x11100211
	.long	286326800                       ; 0x11110010
	.long	286326801                       ; 0x11110011
	.long	286326802                       ; 0x11110012
	.long	286327056                       ; 0x11110110
	.long	286327057                       ; 0x11110111
	.long	286327058                       ; 0x11110112
	.long	286327312                       ; 0x11110210
	.long	286327313                       ; 0x11110211
	.long	286327314                       ; 0x11110212
	.long	286392337                       ; 0x11120011
	.long	286392592                       ; 0x11120110
	.long	286392593                       ; 0x11120111
	.long	286392594                       ; 0x11120112
	.long	286392849                       ; 0x11120211
	.long	303038482                       ; 0x12100012
	.long	303038737                       ; 0x12100111
	.long	303104017                       ; 0x12110011
	.long	303104272                       ; 0x12110110
	.long	303104273                       ; 0x12110111
	.long	303104274                       ; 0x12110112
	.long	303104529                       ; 0x12110211
	.long	303169552                       ; 0x12120010
	.long	303169809                       ; 0x12120111
	.long	303170066                       ; 0x12120212
	.long	269484065                       ; 0x10100021
	.long	269484322                       ; 0x10100122
	.long	269549602                       ; 0x10110022
	.long	269549857                       ; 0x10110121
	.long	269550114                       ; 0x10110222
	.long	269615137                       ; 0x10120021
	.long	269615392                       ; 0x10120120
	.long	286261282                       ; 0x11100022
	.long	286261537                       ; 0x11100121
	.long	286261794                       ; 0x11100222
	.long	286326817                       ; 0x11110021
	.long	286327072                       ; 0x11110120
	.long	286327073                       ; 0x11110121
	.long	286327074                       ; 0x11110122
	.long	286327329                       ; 0x11110221
	.long	286392354                       ; 0x11120022
	.long	286392609                       ; 0x11120121
	.long	303038753                       ; 0x12100121
	.long	303104032                       ; 0x12110020
	.long	303104034                       ; 0x12110022
	.long	303104289                       ; 0x12110121
	.long	303104545                       ; 0x12110221
	.long	303104546                       ; 0x12110222
	.long	303169824                       ; 0x12120120
	.long	269488384                       ; 0x10101100
	.long	269488385                       ; 0x10101101
	.long	269553665                       ; 0x10111001
	.long	269553920                       ; 0x10111100
	.long	269553921                       ; 0x10111101
	.long	269553922                       ; 0x10111102
	.long	269554176                       ; 0x10111200
	.long	269554177                       ; 0x10111201
	.long	269619201                       ; 0x10121001
	.long	269619457                       ; 0x10121101
	.long	269619712                       ; 0x10121200
	.long	269619714                       ; 0x10121202
	.long	286265345                       ; 0x11101001
	.long	286265600                       ; 0x11101100
	.long	286265601                       ; 0x11101101
	.long	286265602                       ; 0x11101102
	.long	286265857                       ; 0x11101201
	.long	286265858                       ; 0x11101202
	.long	286330880                       ; 0x11111000
	.long	286330881                       ; 0x11111001
	.long	286331136                       ; 0x11111100
	.long	286331137                       ; 0x11111101
	.long	286331138                       ; 0x11111102
	.long	286331392                       ; 0x11111200
	.long	286331393                       ; 0x11111201
	.long	286331394                       ; 0x11111202
	.long	286396417                       ; 0x11121001
	.long	286396418                       ; 0x11121002
	.long	286396672                       ; 0x11121100
	.long	286396673                       ; 0x11121101
	.long	286396674                       ; 0x11121102
	.long	286396929                       ; 0x11121201
	.long	303042560                       ; 0x12101000
	.long	303043072                       ; 0x12101200
	.long	303043074                       ; 0x12101202
	.long	303108097                       ; 0x12111001
	.long	303108352                       ; 0x12111100
	.long	303108353                       ; 0x12111101
	.long	303108354                       ; 0x12111102
	.long	303108609                       ; 0x12111201
	.long	303173633                       ; 0x12121001
	.long	303173888                       ; 0x12121100
	.long	303173889                       ; 0x12121101
	.long	303174146                       ; 0x12121202
	.long	269488145                       ; 0x10101011
	.long	269488146                       ; 0x10101012
	.long	269488400                       ; 0x10101110
	.long	269488401                       ; 0x10101111
	.long	269488402                       ; 0x10101112
	.long	269488657                       ; 0x10101211
	.long	269553680                       ; 0x10111010
	.long	269553681                       ; 0x10111011
	.long	269553682                       ; 0x10111012
	.long	269553936                       ; 0x10111110
	.long	269553937                       ; 0x10111111
	.long	269553938                       ; 0x10111112
	.long	269554193                       ; 0x10111211
	.long	269554194                       ; 0x10111212
	.long	269619217                       ; 0x10121011
	.long	269619472                       ; 0x10121110
	.long	269619473                       ; 0x10121111
	.long	269619474                       ; 0x10121112
	.long	269619729                       ; 0x10121211
	.long	286265360                       ; 0x11101010
	.long	286265361                       ; 0x11101011
	.long	286265362                       ; 0x11101012
	.long	286265616                       ; 0x11101110
	.long	286265617                       ; 0x11101111
	.long	286265618                       ; 0x11101112
	.long	286265872                       ; 0x11101210
	.long	286265873                       ; 0x11101211
	.long	286330896                       ; 0x11111010
	.long	286330897                       ; 0x11111011
	.long	286330898                       ; 0x11111012
	.long	286331152                       ; 0x11111110
	.long	286331153                       ; 0x11111111
	.long	286331154                       ; 0x11111112
	.long	286331408                       ; 0x11111210
	.long	286331409                       ; 0x11111211
	.long	286331410                       ; 0x11111212
	.long	286396432                       ; 0x11121010
	.long	286396433                       ; 0x11121011
	.long	286396688                       ; 0x11121110
	.long	286396689                       ; 0x11121111
	.long	286396690                       ; 0x11121112
	.long	286396944                       ; 0x11121210
	.long	286396945                       ; 0x11121211
	.long	286396946                       ; 0x11121212
	.long	303042577                       ; 0x12101011
	.long	303042832                       ; 0x12101110
	.long	303042833                       ; 0x12101111
	.long	303043089                       ; 0x12101211
	.long	303043090                       ; 0x12101212
	.long	303108112                       ; 0x12111010
	.long	303108113                       ; 0x12111011
	.long	303108368                       ; 0x12111110
	.long	303108369                       ; 0x12111111
	.long	303108370                       ; 0x12111112
	.long	303108624                       ; 0x12111210
	.long	303108625                       ; 0x12111211
	.long	303173649                       ; 0x12121011
	.long	303173904                       ; 0x12121110
	.long	303173905                       ; 0x12121111
	.long	303173906                       ; 0x12121112
	.long	303174161                       ; 0x12121211
	.long	269488160                       ; 0x10101020
	.long	269488161                       ; 0x10101021
	.long	269488162                       ; 0x10101022
	.long	269488416                       ; 0x10101120
	.long	269488418                       ; 0x10101122
	.long	269488672                       ; 0x10101220
	.long	269488673                       ; 0x10101221
	.long	269553697                       ; 0x10111021
	.long	269553952                       ; 0x10111120
	.long	269553953                       ; 0x10111121
	.long	269554208                       ; 0x10111220
	.long	269554209                       ; 0x10111221
	.long	269619232                       ; 0x10121020
	.long	269619233                       ; 0x10121021
	.long	269619234                       ; 0x10121022
	.long	269619488                       ; 0x10121120
	.long	269619489                       ; 0x10121121
	.long	269619490                       ; 0x10121122
	.long	269619744                       ; 0x10121220
	.long	269619745                       ; 0x10121221
	.long	286265377                       ; 0x11101021
	.long	286265633                       ; 0x11101121
	.long	286265634                       ; 0x11101122
	.long	286265888                       ; 0x11101220
	.long	286265889                       ; 0x11101221
	.long	286265890                       ; 0x11101222
	.long	286330912                       ; 0x11111020
	.long	286330913                       ; 0x11111021
	.long	286330914                       ; 0x11111022
	.long	286331168                       ; 0x11111120
	.long	286331169                       ; 0x11111121
	.long	286331170                       ; 0x11111122
	.long	286331424                       ; 0x11111220
	.long	286331425                       ; 0x11111221
	.long	286331426                       ; 0x11111222
	.long	286396449                       ; 0x11121021
	.long	286396704                       ; 0x11121120
	.long	286396705                       ; 0x11121121
	.long	286396961                       ; 0x11121221
	.long	303042594                       ; 0x12101022
	.long	303042849                       ; 0x12101121
	.long	303042850                       ; 0x12101122
	.long	303043104                       ; 0x12101220
	.long	303043105                       ; 0x12101221
	.long	303043106                       ; 0x12101222
	.long	303108129                       ; 0x12111021
	.long	303108385                       ; 0x12111121
	.long	303108642                       ; 0x12111222
	.long	303173666                       ; 0x12121022
	.long	303173921                       ; 0x12121121
	.long	303173922                       ; 0x12121122
	.long	303174176                       ; 0x12121220
	.long	303174177                       ; 0x12121221
	.long	269492480                       ; 0x10102100
	.long	269492481                       ; 0x10102101
	.long	269492482                       ; 0x10102102
	.long	269492737                       ; 0x10102201
	.long	269557760                       ; 0x10112000
	.long	269558017                       ; 0x10112101
	.long	269558272                       ; 0x10112200
	.long	269623297                       ; 0x10122001
	.long	269623810                       ; 0x10122202
	.long	286269697                       ; 0x11102101
	.long	286269952                       ; 0x11102200
	.long	286269954                       ; 0x11102202
	.long	286334977                       ; 0x11112001
	.long	286335232                       ; 0x11112100
	.long	286335233                       ; 0x11112101
	.long	286335234                       ; 0x11112102
	.long	286335488                       ; 0x11112200
	.long	286335489                       ; 0x11112201
	.long	286400512                       ; 0x11122000
	.long	286400514                       ; 0x11122002
	.long	286400768                       ; 0x11122100
	.long	286400769                       ; 0x11122101
	.long	303046658                       ; 0x12102002
	.long	303047169                       ; 0x12102201
	.long	303112192                       ; 0x12112000
	.long	303112194                       ; 0x12112002
	.long	303112449                       ; 0x12112101
	.long	303112704                       ; 0x12112200
	.long	303177729                       ; 0x12122001
	.long	303178241                       ; 0x12122201
	.long	269492241                       ; 0x10102011
	.long	269492242                       ; 0x10102012
	.long	269492497                       ; 0x10102111
	.long	269492754                       ; 0x10102212
	.long	269557777                       ; 0x10112011
	.long	269558032                       ; 0x10112110
	.long	269558033                       ; 0x10112111
	.long	269558034                       ; 0x10112112
	.long	269558289                       ; 0x10112211
	.long	269623569                       ; 0x10122111
	.long	286269457                       ; 0x11102011
	.long	286269712                       ; 0x11102110
	.long	286269713                       ; 0x11102111
	.long	286269714                       ; 0x11102112
	.long	286269969                       ; 0x11102211
	.long	286334992                       ; 0x11112010
	.long	286334993                       ; 0x11112011
	.long	286334994                       ; 0x11112012
	.long	286335248                       ; 0x11112110
	.long	286335249                       ; 0x11112111
	.long	286335250                       ; 0x11112112
	.long	286335504                       ; 0x11112210
	.long	286335505                       ; 0x11112211
	.long	286335506                       ; 0x11112212
	.long	286400529                       ; 0x11122011
	.long	286400784                       ; 0x11122110
	.long	286400785                       ; 0x11122111
	.long	286400786                       ; 0x11122112
	.long	286401041                       ; 0x11122211
	.long	303046673                       ; 0x12102011
	.long	303046929                       ; 0x12102111
	.long	303047185                       ; 0x12102211
	.long	303112209                       ; 0x12112011
	.long	303112464                       ; 0x12112110
	.long	303112465                       ; 0x12112111
	.long	303112466                       ; 0x12112112
	.long	303112720                       ; 0x12112210
	.long	303112721                       ; 0x12112211
	.long	303178001                       ; 0x12122111
	.long	269492512                       ; 0x10102120
	.long	269492768                       ; 0x10102220
	.long	269558049                       ; 0x10112121
	.long	269558306                       ; 0x10112222
	.long	269623328                       ; 0x10122020
	.long	269623585                       ; 0x10122121
	.long	269623586                       ; 0x10122122
	.long	269623841                       ; 0x10122221
	.long	286269729                       ; 0x11102121
	.long	286269984                       ; 0x11102220
	.long	286269985                       ; 0x11102221
	.long	286335009                       ; 0x11112021
	.long	286335265                       ; 0x11112121
	.long	286335266                       ; 0x11112122
	.long	286335520                       ; 0x11112220
	.long	286335521                       ; 0x11112221
	.long	286400546                       ; 0x11122022
	.long	286400801                       ; 0x11122121
	.long	286401056                       ; 0x11122220
	.long	286401058                       ; 0x11122222
	.long	303046689                       ; 0x12102021
	.long	303047202                       ; 0x12102222
	.long	303112226                       ; 0x12112022
	.long	303112481                       ; 0x12112121
	.long	303112482                       ; 0x12112122
	.long	303112736                       ; 0x12112220
	.long	303112738                       ; 0x12112222
	.long	303177761                       ; 0x12122021
	.long	270532865                       ; 0x10200101
	.long	270598400                       ; 0x10210100
	.long	270598402                       ; 0x10210102
	.long	270598657                       ; 0x10210201
	.long	270663937                       ; 0x10220101
	.long	287310080                       ; 0x11200100
	.long	287375360                       ; 0x11210000
	.long	287375617                       ; 0x11210101
	.long	287375618                       ; 0x11210102
	.long	287375872                       ; 0x11210200
	.long	287375874                       ; 0x11210202
	.long	287440897                       ; 0x11220001
	.long	287441152                       ; 0x11220100
	.long	287441154                       ; 0x11220102
	.long	287441409                       ; 0x11220201
	.long	304087041                       ; 0x12200001
	.long	304152834                       ; 0x12210102
	.long	304218369                       ; 0x12220101
	.long	270532625                       ; 0x10200011
	.long	270532880                       ; 0x10200110
	.long	270532882                       ; 0x10200112
	.long	270533137                       ; 0x10200211
	.long	270598162                       ; 0x10210012
	.long	270598417                       ; 0x10210111
	.long	270663697                       ; 0x10220011
	.long	270663698                       ; 0x10220012
	.long	270663954                       ; 0x10220112
	.long	270664209                       ; 0x10220211
	.long	287310097                       ; 0x11200111
	.long	287310353                       ; 0x11200211
	.long	287375377                       ; 0x11210011
	.long	287375633                       ; 0x11210111
	.long	287375634                       ; 0x11210112
	.long	287375889                       ; 0x11210211
	.long	287441169                       ; 0x11220111
	.long	287441170                       ; 0x11220112
	.long	287441426                       ; 0x11220212
	.long	304087312                       ; 0x12200110
	.long	304087570                       ; 0x12200212
	.long	304152594                       ; 0x12210012
	.long	304152849                       ; 0x12210111
	.long	304218129                       ; 0x12220011
	.long	304218386                       ; 0x12220112
	.long	304218641                       ; 0x12220211
	.long	270598177                       ; 0x10210021
	.long	270598434                       ; 0x10210122
	.long	270598689                       ; 0x10210221
	.long	287309856                       ; 0x11200020
	.long	287309857                       ; 0x11200021
	.long	287310114                       ; 0x11200122
	.long	287375649                       ; 0x11210121
	.long	287375650                       ; 0x11210122
	.long	287375904                       ; 0x11210220
	.long	287440928                       ; 0x11220020
	.long	304087329                       ; 0x12200121
	.long	304152609                       ; 0x12210021
	.long	304152866                       ; 0x12210122
	.long	304218401                       ; 0x12220121
	.long	270602241                       ; 0x10211001
	.long	270602242                       ; 0x10211002
	.long	270602497                       ; 0x10211101
	.long	270602498                       ; 0x10211102
	.long	270602754                       ; 0x10211202
	.long	270667777                       ; 0x10221001
	.long	270668034                       ; 0x10221102
	.long	270668289                       ; 0x10221201
	.long	287313920                       ; 0x11201000
	.long	287313922                       ; 0x11201002
	.long	287314177                       ; 0x11201101
	.long	287314432                       ; 0x11201200
	.long	287314434                       ; 0x11201202
	.long	287379457                       ; 0x11211001
	.long	287379712                       ; 0x11211100
	.long	287379713                       ; 0x11211101
	.long	287379714                       ; 0x11211102
	.long	287379969                       ; 0x11211201
	.long	287379970                       ; 0x11211202
	.long	287444992                       ; 0x11221000
	.long	287444994                       ; 0x11221002
	.long	287445249                       ; 0x11221101
	.long	304091392                       ; 0x12201100
	.long	304091393                       ; 0x12201101
	.long	304091649                       ; 0x12201201
	.long	304156672                       ; 0x12211000
	.long	304156674                       ; 0x12211002
	.long	304156928                       ; 0x12211100
	.long	304156929                       ; 0x12211101
	.long	304156930                       ; 0x12211102
	.long	304157184                       ; 0x12211200
	.long	304157186                       ; 0x12211202
	.long	304222209                       ; 0x12221001
	.long	304222464                       ; 0x12221100
	.long	304222721                       ; 0x12221201
	.long	270536977                       ; 0x10201111
	.long	270537232                       ; 0x10201210
	.long	270537234                       ; 0x10201212
	.long	270602257                       ; 0x10211011
	.long	270602513                       ; 0x10211111
	.long	270602514                       ; 0x10211112
	.long	270602769                       ; 0x10211211
	.long	287314192                       ; 0x11201110
	.long	287314193                       ; 0x11201111
	.long	287314194                       ; 0x11201112
	.long	287314449                       ; 0x11201211
	.long	287379472                       ; 0x11211010
	.long	287379473                       ; 0x11211011
	.long	287379728                       ; 0x11211110
	.long	287379729                       ; 0x11211111
	.long	287379730                       ; 0x11211112
	.long	287379985                       ; 0x11211211
	.long	287445009                       ; 0x11221011
	.long	287445264                       ; 0x11221110
	.long	287445265                       ; 0x11221111
	.long	287445266                       ; 0x11221112
	.long	287445521                       ; 0x11221211
	.long	304091410                       ; 0x12201112
	.long	304091665                       ; 0x12201211
	.long	304091666                       ; 0x12201212
	.long	304156689                       ; 0x12211011
	.long	304156945                       ; 0x12211111
	.long	304156946                       ; 0x12211112
	.long	304157201                       ; 0x12211211
	.long	304157202                       ; 0x12211212
	.long	304222226                       ; 0x12221012
	.long	304222481                       ; 0x12221111
	.long	304222482                       ; 0x12221112
	.long	304222736                       ; 0x12221210
	.long	270536738                       ; 0x10201022
	.long	270537249                       ; 0x10201221
	.long	270602529                       ; 0x10211121
	.long	270667808                       ; 0x10221020
	.long	270668066                       ; 0x10221122
	.long	270668320                       ; 0x10221220
	.long	270668321                       ; 0x10221221
	.long	287313952                       ; 0x11201020
	.long	287314209                       ; 0x11201121
	.long	287314464                       ; 0x11201220
	.long	287314466                       ; 0x11201222
	.long	287379489                       ; 0x11211021
	.long	287379744                       ; 0x11211120
	.long	287379745                       ; 0x11211121
	.long	287379746                       ; 0x11211122
	.long	287380000                       ; 0x11211220
	.long	287380002                       ; 0x11211222
	.long	287445024                       ; 0x11221020
	.long	287445281                       ; 0x11221121
	.long	287445536                       ; 0x11221220
	.long	304091168                       ; 0x12201020
	.long	304091170                       ; 0x12201022
	.long	304091425                       ; 0x12201121
	.long	304091682                       ; 0x12201222
	.long	304156960                       ; 0x12211120
	.long	304156962                       ; 0x12211122
	.long	304157216                       ; 0x12211220
	.long	304157217                       ; 0x12211221
	.long	304222240                       ; 0x12221020
	.long	304222496                       ; 0x12221120
	.long	304222498                       ; 0x12221122
	.long	304222754                       ; 0x12221222
	.long	270606594                       ; 0x10212102
	.long	270606849                       ; 0x10212201
	.long	270672129                       ; 0x10222101
	.long	287318017                       ; 0x11202001
	.long	287383554                       ; 0x11212002
	.long	287383809                       ; 0x11212101
	.long	287384066                       ; 0x11212202
	.long	287449089                       ; 0x11222001
	.long	287449601                       ; 0x11222201
	.long	304095489                       ; 0x12202101
	.long	304160769                       ; 0x12212001
	.long	304161280                       ; 0x12212200
	.long	304226562                       ; 0x12222102
	.long	270540817                       ; 0x10202011
	.long	270541072                       ; 0x10202110
	.long	270606352                       ; 0x10212010
	.long	270606609                       ; 0x10212111
	.long	270671889                       ; 0x10222011
	.long	270672144                       ; 0x10222110
	.long	270672146                       ; 0x10222112
	.long	270672401                       ; 0x10222211
	.long	287318032                       ; 0x11202010
	.long	287318033                       ; 0x11202011
	.long	287318289                       ; 0x11202111
	.long	287318290                       ; 0x11202112
	.long	287318544                       ; 0x11202210
	.long	287383569                       ; 0x11212011
	.long	287383824                       ; 0x11212110
	.long	287383825                       ; 0x11212111
	.long	287383826                       ; 0x11212112
	.long	287384081                       ; 0x11212211
	.long	287449104                       ; 0x11222010
	.long	287449361                       ; 0x11222111
	.long	287449618                       ; 0x11222212
	.long	304095250                       ; 0x12202012
	.long	304095504                       ; 0x12202110
	.long	304095762                       ; 0x12202212
	.long	304161041                       ; 0x12212111
	.long	304226321                       ; 0x12222011
	.long	304226576                       ; 0x12222110
	.long	304226577                       ; 0x12222111
	.long	304226833                       ; 0x12222211
	.long	270606369                       ; 0x10212021
	.long	270606626                       ; 0x10212122
	.long	270606880                       ; 0x10212220
	.long	287318049                       ; 0x11202021
	.long	287318304                       ; 0x11202120
	.long	287318561                       ; 0x11202221
	.long	287383584                       ; 0x11212020
	.long	287383841                       ; 0x11212121
	.long	287384096                       ; 0x11212220
	.long	287384098                       ; 0x11212222
	.long	287449376                       ; 0x11222120
	.long	287449377                       ; 0x11222121
	.long	287449633                       ; 0x11222221
	.long	304095522                       ; 0x12202122
	.long	304161056                       ; 0x12212120
	.long	304161312                       ; 0x12212220
	.long	304161314                       ; 0x12212222
	.long	304226594                       ; 0x12222122
	.long	536870912                       ; 0x20000000
	.long	536870914                       ; 0x20000002
	.long	536871424                       ; 0x20000200
	.long	536871426                       ; 0x20000202
	.long	537001984                       ; 0x20020000
	.long	537001986                       ; 0x20020002
	.long	537002496                       ; 0x20020200
	.long	537002498                       ; 0x20020202
	.long	553648385                       ; 0x21000101
	.long	553713664                       ; 0x21010000
	.long	553713665                       ; 0x21010001
	.long	553713920                       ; 0x21010100
	.long	553713922                       ; 0x21010102
	.long	553714177                       ; 0x21010201
	.long	553779457                       ; 0x21020101
	.long	570425344                       ; 0x22000000
	.long	570425346                       ; 0x22000002
	.long	570425856                       ; 0x22000200
	.long	570425858                       ; 0x22000202
	.long	570491137                       ; 0x22010101
	.long	570556416                       ; 0x22020000
	.long	570556418                       ; 0x22020002
	.long	570556928                       ; 0x22020200
	.long	570556930                       ; 0x22020202
	.long	536871185                       ; 0x20000111
	.long	536936465                       ; 0x20010011
	.long	536936720                       ; 0x20010110
	.long	536936722                       ; 0x20010112
	.long	536936977                       ; 0x20010211
	.long	537002257                       ; 0x20020111
	.long	553648145                       ; 0x21000011
	.long	553648400                       ; 0x21000110
	.long	553648657                       ; 0x21000211
	.long	553713680                       ; 0x21010010
	.long	553713682                       ; 0x21010012
	.long	553713937                       ; 0x21010111
	.long	553713938                       ; 0x21010112
	.long	553714192                       ; 0x21010210
	.long	553714193                       ; 0x21010211
	.long	553779472                       ; 0x21020110
	.long	553779474                       ; 0x21020112
	.long	553779729                       ; 0x21020211
	.long	570425617                       ; 0x22000111
	.long	570425873                       ; 0x22000211
	.long	570491152                       ; 0x22010110
	.long	570491154                       ; 0x22010112
	.long	570491409                       ; 0x22010211
	.long	570556689                       ; 0x22020111
	.long	536870944                       ; 0x20000020
	.long	536870946                       ; 0x20000022
	.long	536871456                       ; 0x20000220
	.long	536871458                       ; 0x20000222
	.long	536936737                       ; 0x20010121
	.long	537002016                       ; 0x20020020
	.long	537002018                       ; 0x20020022
	.long	537002528                       ; 0x20020220
	.long	537002530                       ; 0x20020222
	.long	553713697                       ; 0x21010021
	.long	553713952                       ; 0x21010120
	.long	553714209                       ; 0x21010221
	.long	553779489                       ; 0x21020121
	.long	570425376                       ; 0x22000020
	.long	570425378                       ; 0x22000022
	.long	570425888                       ; 0x22000220
	.long	570425890                       ; 0x22000222
	.long	570491169                       ; 0x22010121
	.long	570556448                       ; 0x22020020
	.long	570556450                       ; 0x22020022
	.long	570556960                       ; 0x22020220
	.long	570556962                       ; 0x22020222
	.long	536940800                       ; 0x20011100
	.long	536941057                       ; 0x20011201
	.long	553652225                       ; 0x21001001
	.long	553652480                       ; 0x21001100
	.long	553717761                       ; 0x21011001
	.long	553718017                       ; 0x21011101
	.long	553718274                       ; 0x21011202
	.long	553783297                       ; 0x21021001
	.long	553783552                       ; 0x21021100
	.long	553783809                       ; 0x21021201
	.long	570495232                       ; 0x22011100
	.long	570495489                       ; 0x22011201
	.long	536875025                       ; 0x20001011
	.long	536875537                       ; 0x20001211
	.long	536940562                       ; 0x20011012
	.long	536940817                       ; 0x20011111
	.long	536941074                       ; 0x20011212
	.long	537006354                       ; 0x20021112
	.long	537006609                       ; 0x20021211
	.long	553652240                       ; 0x21001010
	.long	553652241                       ; 0x21001011
	.long	553652497                       ; 0x21001111
	.long	553652752                       ; 0x21001210
	.long	553717777                       ; 0x21011011
	.long	553718032                       ; 0x21011110
	.long	553718033                       ; 0x21011111
	.long	553718034                       ; 0x21011112
	.long	553718289                       ; 0x21011211
	.long	553718290                       ; 0x21011212
	.long	553783569                       ; 0x21021111
	.long	553783570                       ; 0x21021112
	.long	553783824                       ; 0x21021210
	.long	553783826                       ; 0x21021212
	.long	570429457                       ; 0x22001011
	.long	570429712                       ; 0x22001110
	.long	570429714                       ; 0x22001112
	.long	570429969                       ; 0x22001211
	.long	570494992                       ; 0x22011010
	.long	570494994                       ; 0x22011012
	.long	570495249                       ; 0x22011111
	.long	570495504                       ; 0x22011210
	.long	570560786                       ; 0x22021112
	.long	536940577                       ; 0x20011021
	.long	536940834                       ; 0x20011122
	.long	536941089                       ; 0x20011221
	.long	537006369                       ; 0x20021121
	.long	553652257                       ; 0x21001021
	.long	553652512                       ; 0x21001120
	.long	553652769                       ; 0x21001221
	.long	553652770                       ; 0x21001222
	.long	553717792                       ; 0x21011020
	.long	553718049                       ; 0x21011121
	.long	553718305                       ; 0x21011221
	.long	553718306                       ; 0x21011222
	.long	553783329                       ; 0x21021021
	.long	553783586                       ; 0x21021122
	.long	553783842                       ; 0x21021222
	.long	570429729                       ; 0x22001121
	.long	570495009                       ; 0x22011021
	.long	570495522                       ; 0x22011222
	.long	570560800                       ; 0x22021120
	.long	536879104                       ; 0x20002000
	.long	536879106                       ; 0x20002002
	.long	536879616                       ; 0x20002200
	.long	536879618                       ; 0x20002202
	.long	536944897                       ; 0x20012101
	.long	537010176                       ; 0x20022000
	.long	537010178                       ; 0x20022002
	.long	537010688                       ; 0x20022200
	.long	537010690                       ; 0x20022202
	.long	553656321                       ; 0x21002001
	.long	553656577                       ; 0x21002101
	.long	553721857                       ; 0x21012001
	.long	553722112                       ; 0x21012100
	.long	553722369                       ; 0x21012201
	.long	553787649                       ; 0x21022101
	.long	553787905                       ; 0x21022201
	.long	570433536                       ; 0x22002000
	.long	570433538                       ; 0x22002002
	.long	570434048                       ; 0x22002200
	.long	570434050                       ; 0x22002202
	.long	570499329                       ; 0x22012101
	.long	570564608                       ; 0x22022000
	.long	570564610                       ; 0x22022002
	.long	570565120                       ; 0x22022200
	.long	570565122                       ; 0x22022202
	.long	536879377                       ; 0x20002111
	.long	536879378                       ; 0x20002112
	.long	536944657                       ; 0x20012011
	.long	536944912                       ; 0x20012110
	.long	536944914                       ; 0x20012112
	.long	537010449                       ; 0x20022111
	.long	553656337                       ; 0x21002011
	.long	553656592                       ; 0x21002110
	.long	553656594                       ; 0x21002112
	.long	553656849                       ; 0x21002211
	.long	553721872                       ; 0x21012010
	.long	553721874                       ; 0x21012012
	.long	553722129                       ; 0x21012111
	.long	553722386                       ; 0x21012212
	.long	553787409                       ; 0x21022011
	.long	553787664                       ; 0x21022110
	.long	570433809                       ; 0x22002111
	.long	570499346                       ; 0x22012112
	.long	570499601                       ; 0x22012211
	.long	570564881                       ; 0x22022111
	.long	536879136                       ; 0x20002020
	.long	536879138                       ; 0x20002022
	.long	536879648                       ; 0x20002220
	.long	536879650                       ; 0x20002222
	.long	536944929                       ; 0x20012121
	.long	537010208                       ; 0x20022020
	.long	537010210                       ; 0x20022022
	.long	537010720                       ; 0x20022220
	.long	537010722                       ; 0x20022222
	.long	553656609                       ; 0x21002121
	.long	553721889                       ; 0x21012021
	.long	553722144                       ; 0x21012120
	.long	553722146                       ; 0x21012122
	.long	570433568                       ; 0x22002020
	.long	570433570                       ; 0x22002022
	.long	570434080                       ; 0x22002220
	.long	570434082                       ; 0x22002222
	.long	570499361                       ; 0x22012121
	.long	570564640                       ; 0x22022020
	.long	570564642                       ; 0x22022022
	.long	570565152                       ; 0x22022220
	.long	570565154                       ; 0x22022222
	.long	537919745                       ; 0x20100101
	.long	537985025                       ; 0x20110001
	.long	537985282                       ; 0x20110102
	.long	537985536                       ; 0x20110200
	.long	537985537                       ; 0x20110201
	.long	538050817                       ; 0x20120101
	.long	554696705                       ; 0x21100001
	.long	554696962                       ; 0x21100102
	.long	554697217                       ; 0x21100201
	.long	554762497                       ; 0x21110101
	.long	554762752                       ; 0x21110200
	.long	554762754                       ; 0x21110202
	.long	554828289                       ; 0x21120201
	.long	554828290                       ; 0x21120202
	.long	571474177                       ; 0x22100101
	.long	571539457                       ; 0x22110001
	.long	571539712                       ; 0x22110100
	.long	571539714                       ; 0x22110102
	.long	571539969                       ; 0x22110201
	.long	571605249                       ; 0x22120101
	.long	537919505                       ; 0x20100011
	.long	537919760                       ; 0x20100110
	.long	537919762                       ; 0x20100112
	.long	537920017                       ; 0x20100211
	.long	537985040                       ; 0x20110010
	.long	537985297                       ; 0x20110111
	.long	537985552                       ; 0x20110210
	.long	537985554                       ; 0x20110212
	.long	538050577                       ; 0x20120011
	.long	538050832                       ; 0x20120110
	.long	538050834                       ; 0x20120112
	.long	538051089                       ; 0x20120211
	.long	554696720                       ; 0x21100010
	.long	554696977                       ; 0x21100111
	.long	554762256                       ; 0x21110010
	.long	554762257                       ; 0x21110011
	.long	554762512                       ; 0x21110110
	.long	554762513                       ; 0x21110111
	.long	554762514                       ; 0x21110112
	.long	554762769                       ; 0x21110211
	.long	554827794                       ; 0x21120012
	.long	554828049                       ; 0x21120111
	.long	571474192                       ; 0x22100110
	.long	571474194                       ; 0x22100112
	.long	571539474                       ; 0x22110012
	.long	571539729                       ; 0x22110111
	.long	571539984                       ; 0x22110210
	.long	571605009                       ; 0x22120011
	.long	571605264                       ; 0x22120110
	.long	571605266                       ; 0x22120112
	.long	571605521                       ; 0x22120211
	.long	537919777                       ; 0x20100121
	.long	537985057                       ; 0x20110021
	.long	537985312                       ; 0x20110120
	.long	537985569                       ; 0x20110221
	.long	538050849                       ; 0x20120121
	.long	554696992                       ; 0x21100120
	.long	554696994                       ; 0x21100122
	.long	554697249                       ; 0x21100221
	.long	554762272                       ; 0x21110020
	.long	554762274                       ; 0x21110022
	.long	554762529                       ; 0x21110121
	.long	554762784                       ; 0x21110220
	.long	554828066                       ; 0x21120122
	.long	554828321                       ; 0x21120221
	.long	571474209                       ; 0x22100121
	.long	571539744                       ; 0x22110120
	.long	571539746                       ; 0x22110122
	.long	571605537                       ; 0x22120221
	.long	537923585                       ; 0x20101001
	.long	537923840                       ; 0x20101100
	.long	537923842                       ; 0x20101102
	.long	537989120                       ; 0x20111000
	.long	537989377                       ; 0x20111101
	.long	537989632                       ; 0x20111200
	.long	538054914                       ; 0x20121102
	.long	554700800                       ; 0x21101000
	.long	554701314                       ; 0x21101202
	.long	554766337                       ; 0x21111001
	.long	554766592                       ; 0x21111100
	.long	554766593                       ; 0x21111101
	.long	554766594                       ; 0x21111102
	.long	554766848                       ; 0x21111200
	.long	554766849                       ; 0x21111201
	.long	554831872                       ; 0x21121000
	.long	554831873                       ; 0x21121001
	.long	554831874                       ; 0x21121002
	.long	554832129                       ; 0x21121101
	.long	571478272                       ; 0x22101100
	.long	571478274                       ; 0x22101102
	.long	571543554                       ; 0x22111002
	.long	571543808                       ; 0x22111100
	.long	571543809                       ; 0x22111101
	.long	571544064                       ; 0x22111200
	.long	571609089                       ; 0x22121001
	.long	571609601                       ; 0x22121201
	.long	537923600                       ; 0x20101010
	.long	537923857                       ; 0x20101111
	.long	537924112                       ; 0x20101210
	.long	537924114                       ; 0x20101212
	.long	537989136                       ; 0x20111010
	.long	537989137                       ; 0x20111011
	.long	537989392                       ; 0x20111110
	.long	537989393                       ; 0x20111111
	.long	537989394                       ; 0x20111112
	.long	537989649                       ; 0x20111211
	.long	538054673                       ; 0x20121011
	.long	538054929                       ; 0x20121111
	.long	538055185                       ; 0x20121211
	.long	538055186                       ; 0x20121212
	.long	554700817                       ; 0x21101011
	.long	554701072                       ; 0x21101110
	.long	554701073                       ; 0x21101111
	.long	554701074                       ; 0x21101112
	.long	554701329                       ; 0x21101211
	.long	554766352                       ; 0x21111010
	.long	554766353                       ; 0x21111011
	.long	554766354                       ; 0x21111012
	.long	554766608                       ; 0x21111110
	.long	554766609                       ; 0x21111111
	.long	554766610                       ; 0x21111112
	.long	554766864                       ; 0x21111210
	.long	554766865                       ; 0x21111211
	.long	554766866                       ; 0x21111212
	.long	554831889                       ; 0x21121011
	.long	554832144                       ; 0x21121110
	.long	554832145                       ; 0x21121111
	.long	554832146                       ; 0x21121112
	.long	554832401                       ; 0x21121211
	.long	571478033                       ; 0x22101011
	.long	571478289                       ; 0x22101111
	.long	571478544                       ; 0x22101210
	.long	571543569                       ; 0x22111011
	.long	571543570                       ; 0x22111012
	.long	571543824                       ; 0x22111110
	.long	571543825                       ; 0x22111111
	.long	571543826                       ; 0x22111112
	.long	571544081                       ; 0x22111211
	.long	571544082                       ; 0x22111212
	.long	571609104                       ; 0x22121010
	.long	571609106                       ; 0x22121012
	.long	571609361                       ; 0x22121111
	.long	571609616                       ; 0x22121210
	.long	571609618                       ; 0x22121212
	.long	537923617                       ; 0x20101021
	.long	537923872                       ; 0x20101120
	.long	537989152                       ; 0x20111020
	.long	537989409                       ; 0x20111121
	.long	537989665                       ; 0x20111221
	.long	538054688                       ; 0x20121020
	.long	538054946                       ; 0x20121122
	.long	538055201                       ; 0x20121221
	.long	554701089                       ; 0x21101121
	.long	554701344                       ; 0x21101220
	.long	554701345                       ; 0x21101221
	.long	554766369                       ; 0x21111021
	.long	554766370                       ; 0x21111022
	.long	554766625                       ; 0x21111121
	.long	554766626                       ; 0x21111122
	.long	554766881                       ; 0x21111221
	.long	554832161                       ; 0x21121121
	.long	554832416                       ; 0x21121220
	.long	571478050                       ; 0x22101022
	.long	571478304                       ; 0x22101120
	.long	571478561                       ; 0x22101221
	.long	571478562                       ; 0x22101222
	.long	571543586                       ; 0x22111022
	.long	571543840                       ; 0x22111120
	.long	571543841                       ; 0x22111121
	.long	571609376                       ; 0x22121120
	.long	571609378                       ; 0x22121122
	.long	571609633                       ; 0x22121221
	.long	537927937                       ; 0x20102101
	.long	537993474                       ; 0x20112102
	.long	537993729                       ; 0x20112201
	.long	538059009                       ; 0x20122101
	.long	554704897                       ; 0x21102001
	.long	554705154                       ; 0x21102102
	.long	554770432                       ; 0x21112000
	.long	554770434                       ; 0x21112002
	.long	554770689                       ; 0x21112101
	.long	554770690                       ; 0x21112102
	.long	554770946                       ; 0x21112202
	.long	554836224                       ; 0x21122100
	.long	554836225                       ; 0x21122101
	.long	571482369                       ; 0x22102101
	.long	571547649                       ; 0x22112001
	.long	571547906                       ; 0x22112102
	.long	571548161                       ; 0x22112201
	.long	571613441                       ; 0x22122101
	.long	537927952                       ; 0x20102110
	.long	537927954                       ; 0x20102112
	.long	537928209                       ; 0x20102211
	.long	537993232                       ; 0x20112010
	.long	537993234                       ; 0x20112012
	.long	537993489                       ; 0x20112111
	.long	537993744                       ; 0x20112210
	.long	537993746                       ; 0x20112212
	.long	538058768                       ; 0x20122010
	.long	538058769                       ; 0x20122011
	.long	538059024                       ; 0x20122110
	.long	538059026                       ; 0x20122112
	.long	554704912                       ; 0x21102010
	.long	554704914                       ; 0x21102012
	.long	554705169                       ; 0x21102111
	.long	554705424                       ; 0x21102210
	.long	554705426                       ; 0x21102212
	.long	554770449                       ; 0x21112011
	.long	554770704                       ; 0x21112110
	.long	554770705                       ; 0x21112111
	.long	554770706                       ; 0x21112112
	.long	554770961                       ; 0x21112211
	.long	554835986                       ; 0x21122012
	.long	554836241                       ; 0x21122111
	.long	554836242                       ; 0x21122112
	.long	554836498                       ; 0x21122212
	.long	571482129                       ; 0x22102011
	.long	571482384                       ; 0x22102110
	.long	571547664                       ; 0x22112010
	.long	571547666                       ; 0x22112012
	.long	571547921                       ; 0x22112111
	.long	571548178                       ; 0x22112212
	.long	571613201                       ; 0x22122011
	.long	571613458                       ; 0x22122112
	.long	537927969                       ; 0x20102121
	.long	537993505                       ; 0x20112121
	.long	538059041                       ; 0x20122121
	.long	554705184                       ; 0x21102120
	.long	554705186                       ; 0x21102122
	.long	554705441                       ; 0x21102221
	.long	554770464                       ; 0x21112020
	.long	554770721                       ; 0x21112121
	.long	554770976                       ; 0x21112220
	.long	554836001                       ; 0x21122021
	.long	571482401                       ; 0x22102121
	.long	571547681                       ; 0x22112021
	.long	571547936                       ; 0x22112120
	.long	571547937                       ; 0x22112121
	.long	571547938                       ; 0x22112122
	.long	538968064                       ; 0x20200000
	.long	538968066                       ; 0x20200002
	.long	538968576                       ; 0x20200200
	.long	538968578                       ; 0x20200202
	.long	539033857                       ; 0x20210101
	.long	539099136                       ; 0x20220000
	.long	539099138                       ; 0x20220002
	.long	539099648                       ; 0x20220200
	.long	539099650                       ; 0x20220202
	.long	555745537                       ; 0x21200101
	.long	555810817                       ; 0x21210001
	.long	555811072                       ; 0x21210100
	.long	555811074                       ; 0x21210102
	.long	555811329                       ; 0x21210201
	.long	572522496                       ; 0x22200000
	.long	572522498                       ; 0x22200002
	.long	572523008                       ; 0x22200200
	.long	572523010                       ; 0x22200202
	.long	572588289                       ; 0x22210101
	.long	572653568                       ; 0x22220000
	.long	572653570                       ; 0x22220002
	.long	572654080                       ; 0x22220200
	.long	572654082                       ; 0x22220202
	.long	538968337                       ; 0x20200111
	.long	538968593                       ; 0x20200211
	.long	539033617                       ; 0x20210011
	.long	539033872                       ; 0x20210110
	.long	539033874                       ; 0x20210112
	.long	539034129                       ; 0x20210211
	.long	539034130                       ; 0x20210212
	.long	555745554                       ; 0x21200112
	.long	555745809                       ; 0x21200211
	.long	555810833                       ; 0x21210011
	.long	555811089                       ; 0x21210111
	.long	555811344                       ; 0x21210210
	.long	555811346                       ; 0x21210212
	.long	555876369                       ; 0x21220011
	.long	555876624                       ; 0x21220110
	.long	572522769                       ; 0x22200111
	.long	572588048                       ; 0x22210010
	.long	572588050                       ; 0x22210012
	.long	572588306                       ; 0x22210112
	.long	572588561                       ; 0x22210211
	.long	538968098                       ; 0x20200022
	.long	538968608                       ; 0x20200220
	.long	538968610                       ; 0x20200222
	.long	539033632                       ; 0x20210020
	.long	539034145                       ; 0x20210221
	.long	539099170                       ; 0x20220022
	.long	539099680                       ; 0x20220220
	.long	539099682                       ; 0x20220222
	.long	555745569                       ; 0x21200121
	.long	555810849                       ; 0x21210021
	.long	555811106                       ; 0x21210122
	.long	555811361                       ; 0x21210221
	.long	555876641                       ; 0x21220121
	.long	572522528                       ; 0x22200020
	.long	572522530                       ; 0x22200022
	.long	572523040                       ; 0x22200220
	.long	572523042                       ; 0x22200222
	.long	572588321                       ; 0x22210121
	.long	572653600                       ; 0x22220020
	.long	572653602                       ; 0x22220022
	.long	572654112                       ; 0x22220220
	.long	572654114                       ; 0x22220222
	.long	539038209                       ; 0x20211201
	.long	539103489                       ; 0x20221101
	.long	555749377                       ; 0x21201001
	.long	555749632                       ; 0x21201100
	.long	555814912                       ; 0x21211000
	.long	555815168                       ; 0x21211100
	.long	555815169                       ; 0x21211101
	.long	555815424                       ; 0x21211200
	.long	555815426                       ; 0x21211202
	.long	555880449                       ; 0x21221001
	.long	555880705                       ; 0x21221101
	.long	555880706                       ; 0x21221102
	.long	555880960                       ; 0x21221200
	.long	555880961                       ; 0x21221201
	.long	572526849                       ; 0x22201101
	.long	538972434                       ; 0x20201112
	.long	538972689                       ; 0x20201211
	.long	539037712                       ; 0x20211010
	.long	539037714                       ; 0x20211012
	.long	539037969                       ; 0x20211111
	.long	539038224                       ; 0x20211210
	.long	539103506                       ; 0x20221112
	.long	539103761                       ; 0x20221211
	.long	555749394                       ; 0x21201012
	.long	555749649                       ; 0x21201111
	.long	555814929                       ; 0x21211011
	.long	555815184                       ; 0x21211110
	.long	555815185                       ; 0x21211111
	.long	555815186                       ; 0x21211112
	.long	555815441                       ; 0x21211211
	.long	555880721                       ; 0x21221111
	.long	555880978                       ; 0x21221212
	.long	572526609                       ; 0x22201011
	.long	572526864                       ; 0x22201110
	.long	572526865                       ; 0x22201111
	.long	572526866                       ; 0x22201112
	.long	572527121                       ; 0x22201211
	.long	572592146                       ; 0x22211012
	.long	572592401                       ; 0x22211111
	.long	572592656                       ; 0x22211210
	.long	538972449                       ; 0x20201121
	.long	539037729                       ; 0x20211021
	.long	539037986                       ; 0x20211122
	.long	539038242                       ; 0x20211222
	.long	539103265                       ; 0x20221021
	.long	539103521                       ; 0x20221121
	.long	555749664                       ; 0x21201120
	.long	555749666                       ; 0x21201122
	.long	555749922                       ; 0x21201222
	.long	555814946                       ; 0x21211022
	.long	555815201                       ; 0x21211121
	.long	555815202                       ; 0x21211122
	.long	555815456                       ; 0x21211220
	.long	555880480                       ; 0x21221020
	.long	555880482                       ; 0x21221022
	.long	572526882                       ; 0x22201122
	.long	572592160                       ; 0x22211020
	.long	572592417                       ; 0x22211121
	.long	572592418                       ; 0x22211122
	.long	572592673                       ; 0x22211221
	.long	572657697                       ; 0x22221021
	.long	572657952                       ; 0x22221120
	.long	572657954                       ; 0x22221122
	.long	538976256                       ; 0x20202000
	.long	538976258                       ; 0x20202002
	.long	538976768                       ; 0x20202200
	.long	538976770                       ; 0x20202202
	.long	539107328                       ; 0x20222000
	.long	539107330                       ; 0x20222002
	.long	539107840                       ; 0x20222200
	.long	539107842                       ; 0x20222202
	.long	555819009                       ; 0x21212001
	.long	555819264                       ; 0x21212100
	.long	555819266                       ; 0x21212102
	.long	555819521                       ; 0x21212201
	.long	572530688                       ; 0x22202000
	.long	572530690                       ; 0x22202002
	.long	572531200                       ; 0x22202200
	.long	572531202                       ; 0x22202202
	.long	572596481                       ; 0x22212101
	.long	572661760                       ; 0x22222000
	.long	572661762                       ; 0x22222002
	.long	572662272                       ; 0x22222200
	.long	572662274                       ; 0x22222202
	.long	538976529                       ; 0x20202111
	.long	539042064                       ; 0x20212110
	.long	539042321                       ; 0x20212211
	.long	539107345                       ; 0x20222011
	.long	539107601                       ; 0x20222111
	.long	555753489                       ; 0x21202011
	.long	555819024                       ; 0x21212010
	.long	555819281                       ; 0x21212111
	.long	555819538                       ; 0x21212212
	.long	555884561                       ; 0x21222011
	.long	555884818                       ; 0x21222112
	.long	555885073                       ; 0x21222211
	.long	572596240                       ; 0x22212010
	.long	572596498                       ; 0x22212112
	.long	538976288                       ; 0x20202020
	.long	538976290                       ; 0x20202022
	.long	538976800                       ; 0x20202220
	.long	538976802                       ; 0x20202222
	.long	539107360                       ; 0x20222020
	.long	539107362                       ; 0x20222022
	.long	539107872                       ; 0x20222220
	.long	539107874                       ; 0x20222222
	.long	555819041                       ; 0x21212021
	.long	555819296                       ; 0x21212120
	.long	555819298                       ; 0x21212122
	.long	572530720                       ; 0x22202020
	.long	572530722                       ; 0x22202022
	.long	572531232                       ; 0x22202220
	.long	572531234                       ; 0x22202222
	.long	572596513                       ; 0x22212121
	.long	572661792                       ; 0x22222020
	.long	572661794                       ; 0x22222022
	.long	572662304                       ; 0x22222220
	.long	572662306                       ; 0x22222222
	.size	_ZL13iq1s_grid_gpu, 8192

	.type	_ZL13kvalues_iq4nl,@object      ; @_ZL13kvalues_iq4nl
	.section	.rodata.cst16,"aM",@progbits,16
	.p2align	4, 0x0
_ZL13kvalues_iq4nl:
	.ascii	"\201\230\255\277\317\335\352\366\001\r\031&5EYq"
	.size	_ZL13kvalues_iq4nl, 16

	.type	_ZL9iq3s_grid,@object           ; @_ZL9iq3s_grid
	.section	.rodata,"a",@progbits
	.p2align	4, 0x0
_ZL9iq3s_grid:
	.long	16843009                        ; 0x1010101
	.long	16843011                        ; 0x1010103
	;; [unrolled: 1-line block ×281, first 2 shown]
	.long	117506309                       ; 0x7010105
	.long	117506819                       ; 0x7010303
	;; [unrolled: 1-line block ×231, first 2 shown]
	.size	_ZL9iq3s_grid, 2048

	.type	_ZL13kvalues_mxfp4,@object      ; @_ZL13kvalues_mxfp4
	.section	.rodata.cst16,"aM",@progbits,16
	.p2align	4, 0x0
_ZL13kvalues_mxfp4:
	.ascii	"\000\001\002\003\004\006\b\f\000\377\376\375\374\372\370\364"
	.size	_ZL13kvalues_mxfp4, 16

	.type	__hip_cuid_d96ff07a68d2359c,@object ; @__hip_cuid_d96ff07a68d2359c
	.section	.bss,"aw",@nobits
	.globl	__hip_cuid_d96ff07a68d2359c
__hip_cuid_d96ff07a68d2359c:
	.byte	0                               ; 0x0
	.size	__hip_cuid_d96ff07a68d2359c, 1

	.ident	"AMD clang version 22.0.0git (https://github.com/RadeonOpenCompute/llvm-project roc-7.2.4 26084 f58b06dce1f9c15707c5f808fd002e18c2accf7e)"
	.section	".note.GNU-stack","",@progbits
	.addrsig
	.addrsig_sym __hip_cuid_d96ff07a68d2359c
	.amdgpu_metadata
---
amdhsa.kernels:
  - .args:
      - .actual_access:  read_only
        .address_space:  global
        .offset:         0
        .size:           8
        .value_kind:     global_buffer
      - .actual_access:  write_only
        .address_space:  global
        .offset:         8
        .size:           8
        .value_kind:     global_buffer
      - .offset:         16
        .size:           8
        .value_kind:     by_value
    .group_segment_fixed_size: 2176
    .kernarg_segment_align: 8
    .kernarg_segment_size: 24
    .language:       OpenCL C
    .language_version:
      - 2
      - 0
    .max_flat_workgroup_size: 1024
    .name:           _ZL25dequantize_block_q8_0_f16ILb0EEvPKvP6__halfl
    .private_segment_fixed_size: 0
    .sgpr_count:     14
    .sgpr_spill_count: 0
    .symbol:         _ZL25dequantize_block_q8_0_f16ILb0EEvPKvP6__halfl.kd
    .uniform_work_group_size: 1
    .uses_dynamic_stack: false
    .vgpr_count:     28
    .vgpr_spill_count: 0
    .wavefront_size: 64
  - .args:
      - .actual_access:  read_only
        .address_space:  global
        .offset:         0
        .size:           8
        .value_kind:     global_buffer
      - .actual_access:  write_only
        .address_space:  global
        .offset:         8
        .size:           8
        .value_kind:     global_buffer
      - .offset:         16
        .size:           8
        .value_kind:     by_value
    .group_segment_fixed_size: 2176
    .kernarg_segment_align: 8
    .kernarg_segment_size: 24
    .language:       OpenCL C
    .language_version:
      - 2
      - 0
    .max_flat_workgroup_size: 1024
    .name:           _ZL25dequantize_block_q8_0_f16ILb1EEvPKvP6__halfl
    .private_segment_fixed_size: 0
    .sgpr_count:     20
    .sgpr_spill_count: 0
    .symbol:         _ZL25dequantize_block_q8_0_f16ILb1EEvPKvP6__halfl.kd
    .uniform_work_group_size: 1
    .uses_dynamic_stack: false
    .vgpr_count:     7
    .vgpr_spill_count: 0
    .wavefront_size: 64
  - .args:
      - .actual_access:  read_only
        .address_space:  global
        .offset:         0
        .size:           8
        .value_kind:     global_buffer
      - .actual_access:  write_only
        .address_space:  global
        .offset:         8
        .size:           8
        .value_kind:     global_buffer
      - .offset:         16
        .size:           4
        .value_kind:     by_value
    .group_segment_fixed_size: 0
    .kernarg_segment_align: 8
    .kernarg_segment_size: 20
    .language:       OpenCL C
    .language_version:
      - 2
      - 0
    .max_flat_workgroup_size: 1024
    .name:           _ZL21dequantize_block_q4_0I6__halfEvPKvPT_i
    .private_segment_fixed_size: 0
    .sgpr_count:     12
    .sgpr_spill_count: 0
    .symbol:         _ZL21dequantize_block_q4_0I6__halfEvPKvPT_i.kd
    .uniform_work_group_size: 1
    .uses_dynamic_stack: false
    .vgpr_count:     15
    .vgpr_spill_count: 0
    .wavefront_size: 64
  - .args:
      - .actual_access:  read_only
        .address_space:  global
        .offset:         0
        .size:           8
        .value_kind:     global_buffer
      - .actual_access:  write_only
        .address_space:  global
        .offset:         8
        .size:           8
        .value_kind:     global_buffer
      - .offset:         16
        .size:           4
        .value_kind:     by_value
    .group_segment_fixed_size: 0
    .kernarg_segment_align: 8
    .kernarg_segment_size: 20
    .language:       OpenCL C
    .language_version:
      - 2
      - 0
    .max_flat_workgroup_size: 1024
    .name:           _ZL21dequantize_block_q4_1I6__halfEvPKvPT_i
    .private_segment_fixed_size: 0
    .sgpr_count:     12
    .sgpr_spill_count: 0
    .symbol:         _ZL21dequantize_block_q4_1I6__halfEvPKvPT_i.kd
    .uniform_work_group_size: 1
    .uses_dynamic_stack: false
    .vgpr_count:     14
    .vgpr_spill_count: 0
    .wavefront_size: 64
  - .args:
      - .actual_access:  read_only
        .address_space:  global
        .offset:         0
        .size:           8
        .value_kind:     global_buffer
      - .actual_access:  write_only
        .address_space:  global
        .offset:         8
        .size:           8
        .value_kind:     global_buffer
    .group_segment_fixed_size: 0
    .kernarg_segment_align: 8
    .kernarg_segment_size: 16
    .language:       OpenCL C
    .language_version:
      - 2
      - 0
    .max_flat_workgroup_size: 1024
    .name:           _ZL21dequantize_block_q2_KI6__halfEvPKvPT_
    .private_segment_fixed_size: 0
    .sgpr_count:     12
    .sgpr_spill_count: 0
    .symbol:         _ZL21dequantize_block_q2_KI6__halfEvPKvPT_.kd
    .uniform_work_group_size: 1
    .uses_dynamic_stack: false
    .vgpr_count:     16
    .vgpr_spill_count: 0
    .wavefront_size: 64
  - .args:
      - .actual_access:  read_only
        .address_space:  global
        .offset:         0
        .size:           8
        .value_kind:     global_buffer
      - .actual_access:  write_only
        .address_space:  global
        .offset:         8
        .size:           8
        .value_kind:     global_buffer
    .group_segment_fixed_size: 0
    .kernarg_segment_align: 8
    .kernarg_segment_size: 16
    .language:       OpenCL C
    .language_version:
      - 2
      - 0
    .max_flat_workgroup_size: 1024
    .name:           _ZL21dequantize_block_q3_KI6__halfEvPKvPT_
    .private_segment_fixed_size: 0
    .sgpr_count:     18
    .sgpr_spill_count: 0
    .symbol:         _ZL21dequantize_block_q3_KI6__halfEvPKvPT_.kd
    .uniform_work_group_size: 1
    .uses_dynamic_stack: false
    .vgpr_count:     17
    .vgpr_spill_count: 0
    .wavefront_size: 64
  - .args:
      - .actual_access:  read_only
        .address_space:  global
        .offset:         0
        .size:           8
        .value_kind:     global_buffer
      - .actual_access:  write_only
        .address_space:  global
        .offset:         8
        .size:           8
        .value_kind:     global_buffer
    .group_segment_fixed_size: 0
    .kernarg_segment_align: 8
    .kernarg_segment_size: 16
    .language:       OpenCL C
    .language_version:
      - 2
      - 0
    .max_flat_workgroup_size: 1024
    .name:           _ZL21dequantize_block_q4_KI6__halfEvPKvPT_
    .private_segment_fixed_size: 0
    .sgpr_count:     13
    .sgpr_spill_count: 0
    .symbol:         _ZL21dequantize_block_q4_KI6__halfEvPKvPT_.kd
    .uniform_work_group_size: 1
    .uses_dynamic_stack: false
    .vgpr_count:     16
    .vgpr_spill_count: 0
    .wavefront_size: 64
  - .args:
      - .actual_access:  read_only
        .address_space:  global
        .offset:         0
        .size:           8
        .value_kind:     global_buffer
      - .actual_access:  write_only
        .address_space:  global
        .offset:         8
        .size:           8
        .value_kind:     global_buffer
    .group_segment_fixed_size: 0
    .kernarg_segment_align: 8
    .kernarg_segment_size: 16
    .language:       OpenCL C
    .language_version:
      - 2
      - 0
    .max_flat_workgroup_size: 1024
    .name:           _ZL21dequantize_block_q5_KI6__halfEvPKvPT_
    .private_segment_fixed_size: 0
    .sgpr_count:     13
    .sgpr_spill_count: 0
    .symbol:         _ZL21dequantize_block_q5_KI6__halfEvPKvPT_.kd
    .uniform_work_group_size: 1
    .uses_dynamic_stack: false
    .vgpr_count:     15
    .vgpr_spill_count: 0
    .wavefront_size: 64
  - .args:
      - .actual_access:  read_only
        .address_space:  global
        .offset:         0
        .size:           8
        .value_kind:     global_buffer
      - .actual_access:  write_only
        .address_space:  global
        .offset:         8
        .size:           8
        .value_kind:     global_buffer
    .group_segment_fixed_size: 0
    .kernarg_segment_align: 8
    .kernarg_segment_size: 16
    .language:       OpenCL C
    .language_version:
      - 2
      - 0
    .max_flat_workgroup_size: 1024
    .name:           _ZL21dequantize_block_q6_KI6__halfEvPKvPT_
    .private_segment_fixed_size: 0
    .sgpr_count:     12
    .sgpr_spill_count: 0
    .symbol:         _ZL21dequantize_block_q6_KI6__halfEvPKvPT_.kd
    .uniform_work_group_size: 1
    .uses_dynamic_stack: false
    .vgpr_count:     15
    .vgpr_spill_count: 0
    .wavefront_size: 64
  - .args:
      - .actual_access:  read_only
        .address_space:  global
        .offset:         0
        .size:           8
        .value_kind:     global_buffer
      - .actual_access:  write_only
        .address_space:  global
        .offset:         8
        .size:           8
        .value_kind:     global_buffer
    .group_segment_fixed_size: 0
    .kernarg_segment_align: 8
    .kernarg_segment_size: 16
    .language:       OpenCL C
    .language_version:
      - 2
      - 0
    .max_flat_workgroup_size: 1024
    .name:           _ZL24dequantize_block_iq2_xxsI6__halfEvPKvPT_
    .private_segment_fixed_size: 0
    .sgpr_count:     12
    .sgpr_spill_count: 0
    .symbol:         _ZL24dequantize_block_iq2_xxsI6__halfEvPKvPT_.kd
    .uniform_work_group_size: 1
    .uses_dynamic_stack: false
    .vgpr_count:     19
    .vgpr_spill_count: 0
    .wavefront_size: 64
  - .args:
      - .actual_access:  read_only
        .address_space:  global
        .offset:         0
        .size:           8
        .value_kind:     global_buffer
      - .actual_access:  write_only
        .address_space:  global
        .offset:         8
        .size:           8
        .value_kind:     global_buffer
    .group_segment_fixed_size: 0
    .kernarg_segment_align: 8
    .kernarg_segment_size: 16
    .language:       OpenCL C
    .language_version:
      - 2
      - 0
    .max_flat_workgroup_size: 1024
    .name:           _ZL23dequantize_block_iq2_xsI6__halfEvPKvPT_
    .private_segment_fixed_size: 0
    .sgpr_count:     13
    .sgpr_spill_count: 0
    .symbol:         _ZL23dequantize_block_iq2_xsI6__halfEvPKvPT_.kd
    .uniform_work_group_size: 1
    .uses_dynamic_stack: false
    .vgpr_count:     19
    .vgpr_spill_count: 0
    .wavefront_size: 64
  - .args:
      - .actual_access:  read_only
        .address_space:  global
        .offset:         0
        .size:           8
        .value_kind:     global_buffer
      - .actual_access:  write_only
        .address_space:  global
        .offset:         8
        .size:           8
        .value_kind:     global_buffer
    .group_segment_fixed_size: 0
    .kernarg_segment_align: 8
    .kernarg_segment_size: 16
    .language:       OpenCL C
    .language_version:
      - 2
      - 0
    .max_flat_workgroup_size: 1024
    .name:           _ZL22dequantize_block_iq2_sI6__halfEvPKvPT_
    .private_segment_fixed_size: 0
    .sgpr_count:     12
    .sgpr_spill_count: 0
    .symbol:         _ZL22dequantize_block_iq2_sI6__halfEvPKvPT_.kd
    .uniform_work_group_size: 1
    .uses_dynamic_stack: false
    .vgpr_count:     19
    .vgpr_spill_count: 0
    .wavefront_size: 64
  - .args:
      - .actual_access:  read_only
        .address_space:  global
        .offset:         0
        .size:           8
        .value_kind:     global_buffer
      - .actual_access:  write_only
        .address_space:  global
        .offset:         8
        .size:           8
        .value_kind:     global_buffer
    .group_segment_fixed_size: 0
    .kernarg_segment_align: 8
    .kernarg_segment_size: 16
    .language:       OpenCL C
    .language_version:
      - 2
      - 0
    .max_flat_workgroup_size: 1024
    .name:           _ZL24dequantize_block_iq3_xxsI6__halfEvPKvPT_
    .private_segment_fixed_size: 0
    .sgpr_count:     12
    .sgpr_spill_count: 0
    .symbol:         _ZL24dequantize_block_iq3_xxsI6__halfEvPKvPT_.kd
    .uniform_work_group_size: 1
    .uses_dynamic_stack: false
    .vgpr_count:     19
    .vgpr_spill_count: 0
    .wavefront_size: 64
  - .args:
      - .actual_access:  read_only
        .address_space:  global
        .offset:         0
        .size:           8
        .value_kind:     global_buffer
      - .actual_access:  write_only
        .address_space:  global
        .offset:         8
        .size:           8
        .value_kind:     global_buffer
    .group_segment_fixed_size: 0
    .kernarg_segment_align: 8
    .kernarg_segment_size: 16
    .language:       OpenCL C
    .language_version:
      - 2
      - 0
    .max_flat_workgroup_size: 1024
    .name:           _ZL22dequantize_block_iq1_sI6__halfEvPKvPT_
    .private_segment_fixed_size: 0
    .sgpr_count:     12
    .sgpr_spill_count: 0
    .symbol:         _ZL22dequantize_block_iq1_sI6__halfEvPKvPT_.kd
    .uniform_work_group_size: 1
    .uses_dynamic_stack: false
    .vgpr_count:     13
    .vgpr_spill_count: 0
    .wavefront_size: 64
  - .args:
      - .actual_access:  read_only
        .address_space:  global
        .offset:         0
        .size:           8
        .value_kind:     global_buffer
      - .actual_access:  write_only
        .address_space:  global
        .offset:         8
        .size:           8
        .value_kind:     global_buffer
    .group_segment_fixed_size: 0
    .kernarg_segment_align: 8
    .kernarg_segment_size: 16
    .language:       OpenCL C
    .language_version:
      - 2
      - 0
    .max_flat_workgroup_size: 1024
    .name:           _ZL22dequantize_block_iq1_mI6__halfEvPKvPT_
    .private_segment_fixed_size: 0
    .sgpr_count:     12
    .sgpr_spill_count: 0
    .symbol:         _ZL22dequantize_block_iq1_mI6__halfEvPKvPT_.kd
    .uniform_work_group_size: 1
    .uses_dynamic_stack: false
    .vgpr_count:     13
    .vgpr_spill_count: 0
    .wavefront_size: 64
  - .args:
      - .actual_access:  read_only
        .address_space:  global
        .offset:         0
        .size:           8
        .value_kind:     global_buffer
      - .actual_access:  write_only
        .address_space:  global
        .offset:         8
        .size:           8
        .value_kind:     global_buffer
    .group_segment_fixed_size: 0
    .kernarg_segment_align: 8
    .kernarg_segment_size: 16
    .language:       OpenCL C
    .language_version:
      - 2
      - 0
    .max_flat_workgroup_size: 1024
    .name:           _ZL23dequantize_block_iq4_nlI6__halfEvPKvPT_
    .private_segment_fixed_size: 0
    .sgpr_count:     12
    .sgpr_spill_count: 0
    .symbol:         _ZL23dequantize_block_iq4_nlI6__halfEvPKvPT_.kd
    .uniform_work_group_size: 1
    .uses_dynamic_stack: false
    .vgpr_count:     18
    .vgpr_spill_count: 0
    .wavefront_size: 64
  - .args:
      - .actual_access:  read_only
        .address_space:  global
        .offset:         0
        .size:           8
        .value_kind:     global_buffer
      - .actual_access:  write_only
        .address_space:  global
        .offset:         8
        .size:           8
        .value_kind:     global_buffer
    .group_segment_fixed_size: 0
    .kernarg_segment_align: 8
    .kernarg_segment_size: 16
    .language:       OpenCL C
    .language_version:
      - 2
      - 0
    .max_flat_workgroup_size: 1024
    .name:           _ZL23dequantize_block_iq4_xsI6__halfEvPKvPT_
    .private_segment_fixed_size: 0
    .sgpr_count:     12
    .sgpr_spill_count: 0
    .symbol:         _ZL23dequantize_block_iq4_xsI6__halfEvPKvPT_.kd
    .uniform_work_group_size: 1
    .uses_dynamic_stack: false
    .vgpr_count:     20
    .vgpr_spill_count: 0
    .wavefront_size: 64
  - .args:
      - .actual_access:  read_only
        .address_space:  global
        .offset:         0
        .size:           8
        .value_kind:     global_buffer
      - .actual_access:  write_only
        .address_space:  global
        .offset:         8
        .size:           8
        .value_kind:     global_buffer
    .group_segment_fixed_size: 0
    .kernarg_segment_align: 8
    .kernarg_segment_size: 16
    .language:       OpenCL C
    .language_version:
      - 2
      - 0
    .max_flat_workgroup_size: 1024
    .name:           _ZL22dequantize_block_iq3_sI6__halfEvPKvPT_
    .private_segment_fixed_size: 0
    .sgpr_count:     12
    .sgpr_spill_count: 0
    .symbol:         _ZL22dequantize_block_iq3_sI6__halfEvPKvPT_.kd
    .uniform_work_group_size: 1
    .uses_dynamic_stack: false
    .vgpr_count:     19
    .vgpr_spill_count: 0
    .wavefront_size: 64
  - .args:
      - .actual_access:  read_only
        .address_space:  global
        .offset:         0
        .size:           8
        .value_kind:     global_buffer
      - .actual_access:  write_only
        .address_space:  global
        .offset:         8
        .size:           8
        .value_kind:     global_buffer
    .group_segment_fixed_size: 0
    .kernarg_segment_align: 8
    .kernarg_segment_size: 16
    .language:       OpenCL C
    .language_version:
      - 2
      - 0
    .max_flat_workgroup_size: 1024
    .name:           _ZL22dequantize_block_mxfp4I6__halfEvPKvPT_
    .private_segment_fixed_size: 0
    .sgpr_count:     12
    .sgpr_spill_count: 0
    .symbol:         _ZL22dequantize_block_mxfp4I6__halfEvPKvPT_.kd
    .uniform_work_group_size: 1
    .uses_dynamic_stack: false
    .vgpr_count:     18
    .vgpr_spill_count: 0
    .wavefront_size: 64
  - .args:
      - .actual_access:  read_only
        .address_space:  global
        .offset:         0
        .size:           8
        .value_kind:     global_buffer
      - .actual_access:  write_only
        .address_space:  global
        .offset:         8
        .size:           8
        .value_kind:     global_buffer
      - .offset:         16
        .size:           8
        .value_kind:     by_value
    .group_segment_fixed_size: 0
    .kernarg_segment_align: 8
    .kernarg_segment_size: 24
    .language:       OpenCL C
    .language_version:
      - 2
      - 0
    .max_flat_workgroup_size: 1024
    .name:           _ZL22dequantize_block_nvfp4I6__halfEvPKvPT_l
    .private_segment_fixed_size: 0
    .sgpr_count:     16
    .sgpr_spill_count: 0
    .symbol:         _ZL22dequantize_block_nvfp4I6__halfEvPKvPT_l.kd
    .uniform_work_group_size: 1
    .uses_dynamic_stack: false
    .vgpr_count:     7
    .vgpr_spill_count: 0
    .wavefront_size: 64
  - .args:
      - .actual_access:  read_only
        .address_space:  global
        .offset:         0
        .size:           8
        .value_kind:     global_buffer
      - .actual_access:  write_only
        .address_space:  global
        .offset:         8
        .size:           8
        .value_kind:     global_buffer
      - .offset:         16
        .size:           4
        .value_kind:     by_value
    .group_segment_fixed_size: 0
    .kernarg_segment_align: 8
    .kernarg_segment_size: 20
    .language:       OpenCL C
    .language_version:
      - 2
      - 0
    .max_flat_workgroup_size: 1024
    .name:           _ZL21dequantize_block_q4_0IfEvPKvPT_i
    .private_segment_fixed_size: 0
    .sgpr_count:     12
    .sgpr_spill_count: 0
    .symbol:         _ZL21dequantize_block_q4_0IfEvPKvPT_i.kd
    .uniform_work_group_size: 1
    .uses_dynamic_stack: false
    .vgpr_count:     14
    .vgpr_spill_count: 0
    .wavefront_size: 64
  - .args:
      - .actual_access:  read_only
        .address_space:  global
        .offset:         0
        .size:           8
        .value_kind:     global_buffer
      - .actual_access:  write_only
        .address_space:  global
        .offset:         8
        .size:           8
        .value_kind:     global_buffer
      - .offset:         16
        .size:           4
        .value_kind:     by_value
    .group_segment_fixed_size: 0
    .kernarg_segment_align: 8
    .kernarg_segment_size: 20
    .language:       OpenCL C
    .language_version:
      - 2
      - 0
    .max_flat_workgroup_size: 1024
    .name:           _ZL21dequantize_block_q4_1IfEvPKvPT_i
    .private_segment_fixed_size: 0
    .sgpr_count:     12
    .sgpr_spill_count: 0
    .symbol:         _ZL21dequantize_block_q4_1IfEvPKvPT_i.kd
    .uniform_work_group_size: 1
    .uses_dynamic_stack: false
    .vgpr_count:     14
    .vgpr_spill_count: 0
    .wavefront_size: 64
  - .args:
      - .actual_access:  read_only
        .address_space:  global
        .offset:         0
        .size:           8
        .value_kind:     global_buffer
      - .actual_access:  write_only
        .address_space:  global
        .offset:         8
        .size:           8
        .value_kind:     global_buffer
    .group_segment_fixed_size: 0
    .kernarg_segment_align: 8
    .kernarg_segment_size: 16
    .language:       OpenCL C
    .language_version:
      - 2
      - 0
    .max_flat_workgroup_size: 1024
    .name:           _ZL21dequantize_block_q2_KIfEvPKvPT_
    .private_segment_fixed_size: 0
    .sgpr_count:     12
    .sgpr_spill_count: 0
    .symbol:         _ZL21dequantize_block_q2_KIfEvPKvPT_.kd
    .uniform_work_group_size: 1
    .uses_dynamic_stack: false
    .vgpr_count:     16
    .vgpr_spill_count: 0
    .wavefront_size: 64
  - .args:
      - .actual_access:  read_only
        .address_space:  global
        .offset:         0
        .size:           8
        .value_kind:     global_buffer
      - .actual_access:  write_only
        .address_space:  global
        .offset:         8
        .size:           8
        .value_kind:     global_buffer
    .group_segment_fixed_size: 0
    .kernarg_segment_align: 8
    .kernarg_segment_size: 16
    .language:       OpenCL C
    .language_version:
      - 2
      - 0
    .max_flat_workgroup_size: 1024
    .name:           _ZL21dequantize_block_q3_KIfEvPKvPT_
    .private_segment_fixed_size: 0
    .sgpr_count:     18
    .sgpr_spill_count: 0
    .symbol:         _ZL21dequantize_block_q3_KIfEvPKvPT_.kd
    .uniform_work_group_size: 1
    .uses_dynamic_stack: false
    .vgpr_count:     17
    .vgpr_spill_count: 0
    .wavefront_size: 64
  - .args:
      - .actual_access:  read_only
        .address_space:  global
        .offset:         0
        .size:           8
        .value_kind:     global_buffer
      - .actual_access:  write_only
        .address_space:  global
        .offset:         8
        .size:           8
        .value_kind:     global_buffer
    .group_segment_fixed_size: 0
    .kernarg_segment_align: 8
    .kernarg_segment_size: 16
    .language:       OpenCL C
    .language_version:
      - 2
      - 0
    .max_flat_workgroup_size: 1024
    .name:           _ZL21dequantize_block_q4_KIfEvPKvPT_
    .private_segment_fixed_size: 0
    .sgpr_count:     13
    .sgpr_spill_count: 0
    .symbol:         _ZL21dequantize_block_q4_KIfEvPKvPT_.kd
    .uniform_work_group_size: 1
    .uses_dynamic_stack: false
    .vgpr_count:     17
    .vgpr_spill_count: 0
    .wavefront_size: 64
  - .args:
      - .actual_access:  read_only
        .address_space:  global
        .offset:         0
        .size:           8
        .value_kind:     global_buffer
      - .actual_access:  write_only
        .address_space:  global
        .offset:         8
        .size:           8
        .value_kind:     global_buffer
    .group_segment_fixed_size: 0
    .kernarg_segment_align: 8
    .kernarg_segment_size: 16
    .language:       OpenCL C
    .language_version:
      - 2
      - 0
    .max_flat_workgroup_size: 1024
    .name:           _ZL21dequantize_block_q5_KIfEvPKvPT_
    .private_segment_fixed_size: 0
    .sgpr_count:     13
    .sgpr_spill_count: 0
    .symbol:         _ZL21dequantize_block_q5_KIfEvPKvPT_.kd
    .uniform_work_group_size: 1
    .uses_dynamic_stack: false
    .vgpr_count:     15
    .vgpr_spill_count: 0
    .wavefront_size: 64
  - .args:
      - .actual_access:  read_only
        .address_space:  global
        .offset:         0
        .size:           8
        .value_kind:     global_buffer
      - .actual_access:  write_only
        .address_space:  global
        .offset:         8
        .size:           8
        .value_kind:     global_buffer
    .group_segment_fixed_size: 0
    .kernarg_segment_align: 8
    .kernarg_segment_size: 16
    .language:       OpenCL C
    .language_version:
      - 2
      - 0
    .max_flat_workgroup_size: 1024
    .name:           _ZL21dequantize_block_q6_KIfEvPKvPT_
    .private_segment_fixed_size: 0
    .sgpr_count:     12
    .sgpr_spill_count: 0
    .symbol:         _ZL21dequantize_block_q6_KIfEvPKvPT_.kd
    .uniform_work_group_size: 1
    .uses_dynamic_stack: false
    .vgpr_count:     15
    .vgpr_spill_count: 0
    .wavefront_size: 64
  - .args:
      - .actual_access:  read_only
        .address_space:  global
        .offset:         0
        .size:           8
        .value_kind:     global_buffer
      - .actual_access:  write_only
        .address_space:  global
        .offset:         8
        .size:           8
        .value_kind:     global_buffer
    .group_segment_fixed_size: 0
    .kernarg_segment_align: 8
    .kernarg_segment_size: 16
    .language:       OpenCL C
    .language_version:
      - 2
      - 0
    .max_flat_workgroup_size: 1024
    .name:           _ZL24dequantize_block_iq2_xxsIfEvPKvPT_
    .private_segment_fixed_size: 0
    .sgpr_count:     12
    .sgpr_spill_count: 0
    .symbol:         _ZL24dequantize_block_iq2_xxsIfEvPKvPT_.kd
    .uniform_work_group_size: 1
    .uses_dynamic_stack: false
    .vgpr_count:     21
    .vgpr_spill_count: 0
    .wavefront_size: 64
  - .args:
      - .actual_access:  read_only
        .address_space:  global
        .offset:         0
        .size:           8
        .value_kind:     global_buffer
      - .actual_access:  write_only
        .address_space:  global
        .offset:         8
        .size:           8
        .value_kind:     global_buffer
    .group_segment_fixed_size: 0
    .kernarg_segment_align: 8
    .kernarg_segment_size: 16
    .language:       OpenCL C
    .language_version:
      - 2
      - 0
    .max_flat_workgroup_size: 1024
    .name:           _ZL23dequantize_block_iq2_xsIfEvPKvPT_
    .private_segment_fixed_size: 0
    .sgpr_count:     13
    .sgpr_spill_count: 0
    .symbol:         _ZL23dequantize_block_iq2_xsIfEvPKvPT_.kd
    .uniform_work_group_size: 1
    .uses_dynamic_stack: false
    .vgpr_count:     20
    .vgpr_spill_count: 0
    .wavefront_size: 64
  - .args:
      - .actual_access:  read_only
        .address_space:  global
        .offset:         0
        .size:           8
        .value_kind:     global_buffer
      - .actual_access:  write_only
        .address_space:  global
        .offset:         8
        .size:           8
        .value_kind:     global_buffer
    .group_segment_fixed_size: 0
    .kernarg_segment_align: 8
    .kernarg_segment_size: 16
    .language:       OpenCL C
    .language_version:
      - 2
      - 0
    .max_flat_workgroup_size: 1024
    .name:           _ZL22dequantize_block_iq2_sIfEvPKvPT_
    .private_segment_fixed_size: 0
    .sgpr_count:     12
    .sgpr_spill_count: 0
    .symbol:         _ZL22dequantize_block_iq2_sIfEvPKvPT_.kd
    .uniform_work_group_size: 1
    .uses_dynamic_stack: false
    .vgpr_count:     21
    .vgpr_spill_count: 0
    .wavefront_size: 64
  - .args:
      - .actual_access:  read_only
        .address_space:  global
        .offset:         0
        .size:           8
        .value_kind:     global_buffer
      - .actual_access:  write_only
        .address_space:  global
        .offset:         8
        .size:           8
        .value_kind:     global_buffer
    .group_segment_fixed_size: 0
    .kernarg_segment_align: 8
    .kernarg_segment_size: 16
    .language:       OpenCL C
    .language_version:
      - 2
      - 0
    .max_flat_workgroup_size: 1024
    .name:           _ZL24dequantize_block_iq3_xxsIfEvPKvPT_
    .private_segment_fixed_size: 0
    .sgpr_count:     12
    .sgpr_spill_count: 0
    .symbol:         _ZL24dequantize_block_iq3_xxsIfEvPKvPT_.kd
    .uniform_work_group_size: 1
    .uses_dynamic_stack: false
    .vgpr_count:     21
    .vgpr_spill_count: 0
    .wavefront_size: 64
  - .args:
      - .actual_access:  read_only
        .address_space:  global
        .offset:         0
        .size:           8
        .value_kind:     global_buffer
      - .actual_access:  write_only
        .address_space:  global
        .offset:         8
        .size:           8
        .value_kind:     global_buffer
    .group_segment_fixed_size: 0
    .kernarg_segment_align: 8
    .kernarg_segment_size: 16
    .language:       OpenCL C
    .language_version:
      - 2
      - 0
    .max_flat_workgroup_size: 1024
    .name:           _ZL22dequantize_block_iq1_sIfEvPKvPT_
    .private_segment_fixed_size: 0
    .sgpr_count:     12
    .sgpr_spill_count: 0
    .symbol:         _ZL22dequantize_block_iq1_sIfEvPKvPT_.kd
    .uniform_work_group_size: 1
    .uses_dynamic_stack: false
    .vgpr_count:     14
    .vgpr_spill_count: 0
    .wavefront_size: 64
  - .args:
      - .actual_access:  read_only
        .address_space:  global
        .offset:         0
        .size:           8
        .value_kind:     global_buffer
      - .actual_access:  write_only
        .address_space:  global
        .offset:         8
        .size:           8
        .value_kind:     global_buffer
    .group_segment_fixed_size: 0
    .kernarg_segment_align: 8
    .kernarg_segment_size: 16
    .language:       OpenCL C
    .language_version:
      - 2
      - 0
    .max_flat_workgroup_size: 1024
    .name:           _ZL22dequantize_block_iq1_mIfEvPKvPT_
    .private_segment_fixed_size: 0
    .sgpr_count:     12
    .sgpr_spill_count: 0
    .symbol:         _ZL22dequantize_block_iq1_mIfEvPKvPT_.kd
    .uniform_work_group_size: 1
    .uses_dynamic_stack: false
    .vgpr_count:     13
    .vgpr_spill_count: 0
    .wavefront_size: 64
  - .args:
      - .actual_access:  read_only
        .address_space:  global
        .offset:         0
        .size:           8
        .value_kind:     global_buffer
      - .actual_access:  write_only
        .address_space:  global
        .offset:         8
        .size:           8
        .value_kind:     global_buffer
    .group_segment_fixed_size: 0
    .kernarg_segment_align: 8
    .kernarg_segment_size: 16
    .language:       OpenCL C
    .language_version:
      - 2
      - 0
    .max_flat_workgroup_size: 1024
    .name:           _ZL23dequantize_block_iq4_nlIfEvPKvPT_
    .private_segment_fixed_size: 0
    .sgpr_count:     12
    .sgpr_spill_count: 0
    .symbol:         _ZL23dequantize_block_iq4_nlIfEvPKvPT_.kd
    .uniform_work_group_size: 1
    .uses_dynamic_stack: false
    .vgpr_count:     20
    .vgpr_spill_count: 0
    .wavefront_size: 64
  - .args:
      - .actual_access:  read_only
        .address_space:  global
        .offset:         0
        .size:           8
        .value_kind:     global_buffer
      - .actual_access:  write_only
        .address_space:  global
        .offset:         8
        .size:           8
        .value_kind:     global_buffer
    .group_segment_fixed_size: 0
    .kernarg_segment_align: 8
    .kernarg_segment_size: 16
    .language:       OpenCL C
    .language_version:
      - 2
      - 0
    .max_flat_workgroup_size: 1024
    .name:           _ZL23dequantize_block_iq4_xsIfEvPKvPT_
    .private_segment_fixed_size: 0
    .sgpr_count:     12
    .sgpr_spill_count: 0
    .symbol:         _ZL23dequantize_block_iq4_xsIfEvPKvPT_.kd
    .uniform_work_group_size: 1
    .uses_dynamic_stack: false
    .vgpr_count:     21
    .vgpr_spill_count: 0
    .wavefront_size: 64
  - .args:
      - .actual_access:  read_only
        .address_space:  global
        .offset:         0
        .size:           8
        .value_kind:     global_buffer
      - .actual_access:  write_only
        .address_space:  global
        .offset:         8
        .size:           8
        .value_kind:     global_buffer
    .group_segment_fixed_size: 0
    .kernarg_segment_align: 8
    .kernarg_segment_size: 16
    .language:       OpenCL C
    .language_version:
      - 2
      - 0
    .max_flat_workgroup_size: 1024
    .name:           _ZL22dequantize_block_iq3_sIfEvPKvPT_
    .private_segment_fixed_size: 0
    .sgpr_count:     12
    .sgpr_spill_count: 0
    .symbol:         _ZL22dequantize_block_iq3_sIfEvPKvPT_.kd
    .uniform_work_group_size: 1
    .uses_dynamic_stack: false
    .vgpr_count:     21
    .vgpr_spill_count: 0
    .wavefront_size: 64
  - .args:
      - .actual_access:  read_only
        .address_space:  global
        .offset:         0
        .size:           8
        .value_kind:     global_buffer
      - .actual_access:  write_only
        .address_space:  global
        .offset:         8
        .size:           8
        .value_kind:     global_buffer
    .group_segment_fixed_size: 0
    .kernarg_segment_align: 8
    .kernarg_segment_size: 16
    .language:       OpenCL C
    .language_version:
      - 2
      - 0
    .max_flat_workgroup_size: 1024
    .name:           _ZL22dequantize_block_mxfp4IfEvPKvPT_
    .private_segment_fixed_size: 0
    .sgpr_count:     12
    .sgpr_spill_count: 0
    .symbol:         _ZL22dequantize_block_mxfp4IfEvPKvPT_.kd
    .uniform_work_group_size: 1
    .uses_dynamic_stack: false
    .vgpr_count:     20
    .vgpr_spill_count: 0
    .wavefront_size: 64
  - .args:
      - .actual_access:  read_only
        .address_space:  global
        .offset:         0
        .size:           8
        .value_kind:     global_buffer
      - .actual_access:  write_only
        .address_space:  global
        .offset:         8
        .size:           8
        .value_kind:     global_buffer
      - .offset:         16
        .size:           8
        .value_kind:     by_value
    .group_segment_fixed_size: 0
    .kernarg_segment_align: 8
    .kernarg_segment_size: 24
    .language:       OpenCL C
    .language_version:
      - 2
      - 0
    .max_flat_workgroup_size: 1024
    .name:           _ZL22dequantize_block_nvfp4IfEvPKvPT_l
    .private_segment_fixed_size: 0
    .sgpr_count:     16
    .sgpr_spill_count: 0
    .symbol:         _ZL22dequantize_block_nvfp4IfEvPKvPT_l.kd
    .uniform_work_group_size: 1
    .uses_dynamic_stack: false
    .vgpr_count:     7
    .vgpr_spill_count: 0
    .wavefront_size: 64
  - .args:
      - .actual_access:  read_only
        .address_space:  global
        .offset:         0
        .size:           8
        .value_kind:     global_buffer
      - .actual_access:  write_only
        .address_space:  global
        .offset:         8
        .size:           8
        .value_kind:     global_buffer
      - .offset:         16
        .size:           8
        .value_kind:     by_value
      - .offset:         24
        .size:           8
        .value_kind:     by_value
      - .offset:         32
        .size:           8
        .value_kind:     by_value
      - .offset:         40
        .size:           12
        .value_kind:     by_value
      - .offset:         56
        .size:           8
        .value_kind:     by_value
      - .offset:         64
        .size:           8
        .value_kind:     by_value
      - .offset:         72
        .size:           8
        .value_kind:     by_value
      - .offset:         80
        .size:           4
        .value_kind:     hidden_block_count_x
      - .offset:         84
        .size:           4
        .value_kind:     hidden_block_count_y
      - .offset:         88
        .size:           4
        .value_kind:     hidden_block_count_z
      - .offset:         92
        .size:           2
        .value_kind:     hidden_group_size_x
      - .offset:         94
        .size:           2
        .value_kind:     hidden_group_size_y
      - .offset:         96
        .size:           2
        .value_kind:     hidden_group_size_z
      - .offset:         98
        .size:           2
        .value_kind:     hidden_remainder_x
      - .offset:         100
        .size:           2
        .value_kind:     hidden_remainder_y
      - .offset:         102
        .size:           2
        .value_kind:     hidden_remainder_z
      - .offset:         120
        .size:           8
        .value_kind:     hidden_global_offset_x
      - .offset:         128
        .size:           8
        .value_kind:     hidden_global_offset_y
      - .offset:         136
        .size:           8
        .value_kind:     hidden_global_offset_z
      - .offset:         144
        .size:           2
        .value_kind:     hidden_grid_dims
    .group_segment_fixed_size: 0
    .kernarg_segment_align: 8
    .kernarg_segment_size: 336
    .language:       OpenCL C
    .language_version:
      - 2
      - 0
    .max_flat_workgroup_size: 1024
    .name:           _ZL13convert_unaryIf6__halfEvPKvPT0_lll15HIP_vector_typeIjLj3EElll
    .private_segment_fixed_size: 0
    .sgpr_count:     40
    .sgpr_spill_count: 0
    .symbol:         _ZL13convert_unaryIf6__halfEvPKvPT0_lll15HIP_vector_typeIjLj3EElll.kd
    .uniform_work_group_size: 1
    .uses_dynamic_stack: false
    .vgpr_count:     14
    .vgpr_spill_count: 0
    .wavefront_size: 64
  - .args:
      - .actual_access:  read_only
        .address_space:  global
        .offset:         0
        .size:           8
        .value_kind:     global_buffer
      - .actual_access:  write_only
        .address_space:  global
        .offset:         8
        .size:           8
        .value_kind:     global_buffer
      - .offset:         16
        .size:           8
        .value_kind:     by_value
      - .offset:         24
        .size:           8
        .value_kind:     by_value
      - .offset:         32
        .size:           8
        .value_kind:     by_value
      - .offset:         40
        .size:           12
        .value_kind:     by_value
      - .offset:         56
        .size:           8
        .value_kind:     by_value
      - .offset:         64
        .size:           8
        .value_kind:     by_value
      - .offset:         72
        .size:           8
        .value_kind:     by_value
      - .offset:         80
        .size:           4
        .value_kind:     hidden_block_count_x
      - .offset:         84
        .size:           4
        .value_kind:     hidden_block_count_y
      - .offset:         88
        .size:           4
        .value_kind:     hidden_block_count_z
      - .offset:         92
        .size:           2
        .value_kind:     hidden_group_size_x
      - .offset:         94
        .size:           2
        .value_kind:     hidden_group_size_y
      - .offset:         96
        .size:           2
        .value_kind:     hidden_group_size_z
      - .offset:         98
        .size:           2
        .value_kind:     hidden_remainder_x
      - .offset:         100
        .size:           2
        .value_kind:     hidden_remainder_y
      - .offset:         102
        .size:           2
        .value_kind:     hidden_remainder_z
      - .offset:         120
        .size:           8
        .value_kind:     hidden_global_offset_x
      - .offset:         128
        .size:           8
        .value_kind:     hidden_global_offset_y
      - .offset:         136
        .size:           8
        .value_kind:     hidden_global_offset_z
      - .offset:         144
        .size:           2
        .value_kind:     hidden_grid_dims
    .group_segment_fixed_size: 0
    .kernarg_segment_align: 8
    .kernarg_segment_size: 336
    .language:       OpenCL C
    .language_version:
      - 2
      - 0
    .max_flat_workgroup_size: 1024
    .name:           _ZL16dequantize_blockILi128ELi1EXadL_ZL15dequantize_q1_0PKvliR15HIP_vector_typeIfLj2EEEE6__halfEvS1_PT2_lllS2_IjLj3EElll
    .private_segment_fixed_size: 0
    .sgpr_count:     43
    .sgpr_spill_count: 0
    .symbol:         _ZL16dequantize_blockILi128ELi1EXadL_ZL15dequantize_q1_0PKvliR15HIP_vector_typeIfLj2EEEE6__halfEvS1_PT2_lllS2_IjLj3EElll.kd
    .uniform_work_group_size: 1
    .uses_dynamic_stack: false
    .vgpr_count:     18
    .vgpr_spill_count: 0
    .wavefront_size: 64
  - .args:
      - .actual_access:  read_only
        .address_space:  global
        .offset:         0
        .size:           8
        .value_kind:     global_buffer
      - .actual_access:  write_only
        .address_space:  global
        .offset:         8
        .size:           8
        .value_kind:     global_buffer
      - .offset:         16
        .size:           8
        .value_kind:     by_value
      - .offset:         24
        .size:           8
        .value_kind:     by_value
      - .offset:         32
        .size:           8
        .value_kind:     by_value
      - .offset:         40
        .size:           12
        .value_kind:     by_value
      - .offset:         56
        .size:           8
        .value_kind:     by_value
      - .offset:         64
        .size:           8
        .value_kind:     by_value
      - .offset:         72
        .size:           8
        .value_kind:     by_value
      - .offset:         80
        .size:           4
        .value_kind:     hidden_block_count_x
      - .offset:         84
        .size:           4
        .value_kind:     hidden_block_count_y
      - .offset:         88
        .size:           4
        .value_kind:     hidden_block_count_z
      - .offset:         92
        .size:           2
        .value_kind:     hidden_group_size_x
      - .offset:         94
        .size:           2
        .value_kind:     hidden_group_size_y
      - .offset:         96
        .size:           2
        .value_kind:     hidden_group_size_z
      - .offset:         98
        .size:           2
        .value_kind:     hidden_remainder_x
      - .offset:         100
        .size:           2
        .value_kind:     hidden_remainder_y
      - .offset:         102
        .size:           2
        .value_kind:     hidden_remainder_z
      - .offset:         120
        .size:           8
        .value_kind:     hidden_global_offset_x
      - .offset:         128
        .size:           8
        .value_kind:     hidden_global_offset_y
      - .offset:         136
        .size:           8
        .value_kind:     hidden_global_offset_z
      - .offset:         144
        .size:           2
        .value_kind:     hidden_grid_dims
    .group_segment_fixed_size: 0
    .kernarg_segment_align: 8
    .kernarg_segment_size: 336
    .language:       OpenCL C
    .language_version:
      - 2
      - 0
    .max_flat_workgroup_size: 1024
    .name:           _ZL16dequantize_blockILi32ELi2EXadL_ZL15dequantize_q4_0PKvliR15HIP_vector_typeIfLj2EEEE6__halfEvS1_PT2_lllS2_IjLj3EElll
    .private_segment_fixed_size: 0
    .sgpr_count:     43
    .sgpr_spill_count: 0
    .symbol:         _ZL16dequantize_blockILi32ELi2EXadL_ZL15dequantize_q4_0PKvliR15HIP_vector_typeIfLj2EEEE6__halfEvS1_PT2_lllS2_IjLj3EElll.kd
    .uniform_work_group_size: 1
    .uses_dynamic_stack: false
    .vgpr_count:     16
    .vgpr_spill_count: 0
    .wavefront_size: 64
  - .args:
      - .actual_access:  read_only
        .address_space:  global
        .offset:         0
        .size:           8
        .value_kind:     global_buffer
      - .actual_access:  write_only
        .address_space:  global
        .offset:         8
        .size:           8
        .value_kind:     global_buffer
      - .offset:         16
        .size:           8
        .value_kind:     by_value
      - .offset:         24
        .size:           8
        .value_kind:     by_value
      - .offset:         32
        .size:           8
        .value_kind:     by_value
      - .offset:         40
        .size:           12
        .value_kind:     by_value
      - .offset:         56
        .size:           8
        .value_kind:     by_value
      - .offset:         64
        .size:           8
        .value_kind:     by_value
      - .offset:         72
        .size:           8
        .value_kind:     by_value
      - .offset:         80
        .size:           4
        .value_kind:     hidden_block_count_x
      - .offset:         84
        .size:           4
        .value_kind:     hidden_block_count_y
      - .offset:         88
        .size:           4
        .value_kind:     hidden_block_count_z
      - .offset:         92
        .size:           2
        .value_kind:     hidden_group_size_x
      - .offset:         94
        .size:           2
        .value_kind:     hidden_group_size_y
      - .offset:         96
        .size:           2
        .value_kind:     hidden_group_size_z
      - .offset:         98
        .size:           2
        .value_kind:     hidden_remainder_x
      - .offset:         100
        .size:           2
        .value_kind:     hidden_remainder_y
      - .offset:         102
        .size:           2
        .value_kind:     hidden_remainder_z
      - .offset:         120
        .size:           8
        .value_kind:     hidden_global_offset_x
      - .offset:         128
        .size:           8
        .value_kind:     hidden_global_offset_y
      - .offset:         136
        .size:           8
        .value_kind:     hidden_global_offset_z
      - .offset:         144
        .size:           2
        .value_kind:     hidden_grid_dims
    .group_segment_fixed_size: 0
    .kernarg_segment_align: 8
    .kernarg_segment_size: 336
    .language:       OpenCL C
    .language_version:
      - 2
      - 0
    .max_flat_workgroup_size: 1024
    .name:           _ZL16dequantize_blockILi32ELi2EXadL_ZL15dequantize_q4_1PKvliR15HIP_vector_typeIfLj2EEEE6__halfEvS1_PT2_lllS2_IjLj3EElll
    .private_segment_fixed_size: 0
    .sgpr_count:     43
    .sgpr_spill_count: 0
    .symbol:         _ZL16dequantize_blockILi32ELi2EXadL_ZL15dequantize_q4_1PKvliR15HIP_vector_typeIfLj2EEEE6__halfEvS1_PT2_lllS2_IjLj3EElll.kd
    .uniform_work_group_size: 1
    .uses_dynamic_stack: false
    .vgpr_count:     16
    .vgpr_spill_count: 0
    .wavefront_size: 64
  - .args:
      - .actual_access:  read_only
        .address_space:  global
        .offset:         0
        .size:           8
        .value_kind:     global_buffer
      - .actual_access:  write_only
        .address_space:  global
        .offset:         8
        .size:           8
        .value_kind:     global_buffer
      - .offset:         16
        .size:           8
        .value_kind:     by_value
      - .offset:         24
        .size:           8
        .value_kind:     by_value
      - .offset:         32
        .size:           8
        .value_kind:     by_value
      - .offset:         40
        .size:           12
        .value_kind:     by_value
      - .offset:         56
        .size:           8
        .value_kind:     by_value
      - .offset:         64
        .size:           8
        .value_kind:     by_value
      - .offset:         72
        .size:           8
        .value_kind:     by_value
      - .offset:         80
        .size:           4
        .value_kind:     hidden_block_count_x
      - .offset:         84
        .size:           4
        .value_kind:     hidden_block_count_y
      - .offset:         88
        .size:           4
        .value_kind:     hidden_block_count_z
      - .offset:         92
        .size:           2
        .value_kind:     hidden_group_size_x
      - .offset:         94
        .size:           2
        .value_kind:     hidden_group_size_y
      - .offset:         96
        .size:           2
        .value_kind:     hidden_group_size_z
      - .offset:         98
        .size:           2
        .value_kind:     hidden_remainder_x
      - .offset:         100
        .size:           2
        .value_kind:     hidden_remainder_y
      - .offset:         102
        .size:           2
        .value_kind:     hidden_remainder_z
      - .offset:         120
        .size:           8
        .value_kind:     hidden_global_offset_x
      - .offset:         128
        .size:           8
        .value_kind:     hidden_global_offset_y
      - .offset:         136
        .size:           8
        .value_kind:     hidden_global_offset_z
      - .offset:         144
        .size:           2
        .value_kind:     hidden_grid_dims
    .group_segment_fixed_size: 0
    .kernarg_segment_align: 8
    .kernarg_segment_size: 336
    .language:       OpenCL C
    .language_version:
      - 2
      - 0
    .max_flat_workgroup_size: 1024
    .name:           _ZL16dequantize_blockILi32ELi2EXadL_ZL15dequantize_q5_0PKvliR15HIP_vector_typeIfLj2EEEE6__halfEvS1_PT2_lllS2_IjLj3EElll
    .private_segment_fixed_size: 0
    .sgpr_count:     44
    .sgpr_spill_count: 0
    .symbol:         _ZL16dequantize_blockILi32ELi2EXadL_ZL15dequantize_q5_0PKvliR15HIP_vector_typeIfLj2EEEE6__halfEvS1_PT2_lllS2_IjLj3EElll.kd
    .uniform_work_group_size: 1
    .uses_dynamic_stack: false
    .vgpr_count:     18
    .vgpr_spill_count: 0
    .wavefront_size: 64
  - .args:
      - .actual_access:  read_only
        .address_space:  global
        .offset:         0
        .size:           8
        .value_kind:     global_buffer
      - .actual_access:  write_only
        .address_space:  global
        .offset:         8
        .size:           8
        .value_kind:     global_buffer
      - .offset:         16
        .size:           8
        .value_kind:     by_value
      - .offset:         24
        .size:           8
        .value_kind:     by_value
      - .offset:         32
        .size:           8
        .value_kind:     by_value
      - .offset:         40
        .size:           12
        .value_kind:     by_value
      - .offset:         56
        .size:           8
        .value_kind:     by_value
      - .offset:         64
        .size:           8
        .value_kind:     by_value
      - .offset:         72
        .size:           8
        .value_kind:     by_value
      - .offset:         80
        .size:           4
        .value_kind:     hidden_block_count_x
      - .offset:         84
        .size:           4
        .value_kind:     hidden_block_count_y
      - .offset:         88
        .size:           4
        .value_kind:     hidden_block_count_z
      - .offset:         92
        .size:           2
        .value_kind:     hidden_group_size_x
      - .offset:         94
        .size:           2
        .value_kind:     hidden_group_size_y
      - .offset:         96
        .size:           2
        .value_kind:     hidden_group_size_z
      - .offset:         98
        .size:           2
        .value_kind:     hidden_remainder_x
      - .offset:         100
        .size:           2
        .value_kind:     hidden_remainder_y
      - .offset:         102
        .size:           2
        .value_kind:     hidden_remainder_z
      - .offset:         120
        .size:           8
        .value_kind:     hidden_global_offset_x
      - .offset:         128
        .size:           8
        .value_kind:     hidden_global_offset_y
      - .offset:         136
        .size:           8
        .value_kind:     hidden_global_offset_z
      - .offset:         144
        .size:           2
        .value_kind:     hidden_grid_dims
    .group_segment_fixed_size: 0
    .kernarg_segment_align: 8
    .kernarg_segment_size: 336
    .language:       OpenCL C
    .language_version:
      - 2
      - 0
    .max_flat_workgroup_size: 1024
    .name:           _ZL16dequantize_blockILi32ELi2EXadL_ZL15dequantize_q5_1PKvliR15HIP_vector_typeIfLj2EEEE6__halfEvS1_PT2_lllS2_IjLj3EElll
    .private_segment_fixed_size: 0
    .sgpr_count:     43
    .sgpr_spill_count: 0
    .symbol:         _ZL16dequantize_blockILi32ELi2EXadL_ZL15dequantize_q5_1PKvliR15HIP_vector_typeIfLj2EEEE6__halfEvS1_PT2_lllS2_IjLj3EElll.kd
    .uniform_work_group_size: 1
    .uses_dynamic_stack: false
    .vgpr_count:     18
    .vgpr_spill_count: 0
    .wavefront_size: 64
  - .args:
      - .actual_access:  read_only
        .address_space:  global
        .offset:         0
        .size:           8
        .value_kind:     global_buffer
      - .actual_access:  write_only
        .address_space:  global
        .offset:         8
        .size:           8
        .value_kind:     global_buffer
      - .offset:         16
        .size:           8
        .value_kind:     by_value
      - .offset:         24
        .size:           8
        .value_kind:     by_value
      - .offset:         32
        .size:           8
        .value_kind:     by_value
      - .offset:         40
        .size:           12
        .value_kind:     by_value
      - .offset:         56
        .size:           8
        .value_kind:     by_value
      - .offset:         64
        .size:           8
        .value_kind:     by_value
      - .offset:         72
        .size:           8
        .value_kind:     by_value
      - .offset:         80
        .size:           4
        .value_kind:     hidden_block_count_x
      - .offset:         84
        .size:           4
        .value_kind:     hidden_block_count_y
      - .offset:         88
        .size:           4
        .value_kind:     hidden_block_count_z
      - .offset:         92
        .size:           2
        .value_kind:     hidden_group_size_x
      - .offset:         94
        .size:           2
        .value_kind:     hidden_group_size_y
      - .offset:         96
        .size:           2
        .value_kind:     hidden_group_size_z
      - .offset:         98
        .size:           2
        .value_kind:     hidden_remainder_x
      - .offset:         100
        .size:           2
        .value_kind:     hidden_remainder_y
      - .offset:         102
        .size:           2
        .value_kind:     hidden_remainder_z
      - .offset:         120
        .size:           8
        .value_kind:     hidden_global_offset_x
      - .offset:         128
        .size:           8
        .value_kind:     hidden_global_offset_y
      - .offset:         136
        .size:           8
        .value_kind:     hidden_global_offset_z
      - .offset:         144
        .size:           2
        .value_kind:     hidden_grid_dims
    .group_segment_fixed_size: 0
    .kernarg_segment_align: 8
    .kernarg_segment_size: 336
    .language:       OpenCL C
    .language_version:
      - 2
      - 0
    .max_flat_workgroup_size: 1024
    .name:           _ZL16dequantize_blockILi32ELi1EXadL_ZL15dequantize_q8_0PKvliR15HIP_vector_typeIfLj2EEEE6__halfEvS1_PT2_lllS2_IjLj3EElll
    .private_segment_fixed_size: 0
    .sgpr_count:     43
    .sgpr_spill_count: 0
    .symbol:         _ZL16dequantize_blockILi32ELi1EXadL_ZL15dequantize_q8_0PKvliR15HIP_vector_typeIfLj2EEEE6__halfEvS1_PT2_lllS2_IjLj3EElll.kd
    .uniform_work_group_size: 1
    .uses_dynamic_stack: false
    .vgpr_count:     16
    .vgpr_spill_count: 0
    .wavefront_size: 64
  - .args:
      - .actual_access:  read_only
        .address_space:  global
        .offset:         0
        .size:           8
        .value_kind:     global_buffer
      - .actual_access:  write_only
        .address_space:  global
        .offset:         8
        .size:           8
        .value_kind:     global_buffer
      - .offset:         16
        .size:           8
        .value_kind:     by_value
      - .offset:         24
        .size:           8
        .value_kind:     by_value
      - .offset:         32
        .size:           8
        .value_kind:     by_value
      - .offset:         40
        .size:           12
        .value_kind:     by_value
      - .offset:         56
        .size:           8
        .value_kind:     by_value
      - .offset:         64
        .size:           8
        .value_kind:     by_value
      - .offset:         72
        .size:           8
        .value_kind:     by_value
      - .offset:         80
        .size:           4
        .value_kind:     hidden_block_count_x
      - .offset:         84
        .size:           4
        .value_kind:     hidden_block_count_y
      - .offset:         88
        .size:           4
        .value_kind:     hidden_block_count_z
      - .offset:         92
        .size:           2
        .value_kind:     hidden_group_size_x
      - .offset:         94
        .size:           2
        .value_kind:     hidden_group_size_y
      - .offset:         96
        .size:           2
        .value_kind:     hidden_group_size_z
      - .offset:         98
        .size:           2
        .value_kind:     hidden_remainder_x
      - .offset:         100
        .size:           2
        .value_kind:     hidden_remainder_y
      - .offset:         102
        .size:           2
        .value_kind:     hidden_remainder_z
      - .offset:         120
        .size:           8
        .value_kind:     hidden_global_offset_x
      - .offset:         128
        .size:           8
        .value_kind:     hidden_global_offset_y
      - .offset:         136
        .size:           8
        .value_kind:     hidden_global_offset_z
      - .offset:         144
        .size:           2
        .value_kind:     hidden_grid_dims
    .group_segment_fixed_size: 0
    .kernarg_segment_align: 8
    .kernarg_segment_size: 336
    .language:       OpenCL C
    .language_version:
      - 2
      - 0
    .max_flat_workgroup_size: 1024
    .name:           _ZL13convert_unaryI14__hip_bfloat166__halfEvPKvPT0_lll15HIP_vector_typeIjLj3EElll
    .private_segment_fixed_size: 0
    .sgpr_count:     90
    .sgpr_spill_count: 0
    .symbol:         _ZL13convert_unaryI14__hip_bfloat166__halfEvPKvPT0_lll15HIP_vector_typeIjLj3EElll.kd
    .uniform_work_group_size: 1
    .uses_dynamic_stack: false
    .vgpr_count:     16
    .vgpr_spill_count: 0
    .wavefront_size: 64
  - .args:
      - .actual_access:  read_only
        .address_space:  global
        .offset:         0
        .size:           8
        .value_kind:     global_buffer
      - .actual_access:  write_only
        .address_space:  global
        .offset:         8
        .size:           8
        .value_kind:     global_buffer
      - .offset:         16
        .size:           8
        .value_kind:     by_value
      - .offset:         24
        .size:           8
        .value_kind:     by_value
      - .offset:         32
        .size:           8
        .value_kind:     by_value
      - .offset:         40
        .size:           12
        .value_kind:     by_value
      - .offset:         56
        .size:           8
        .value_kind:     by_value
      - .offset:         64
        .size:           8
        .value_kind:     by_value
      - .offset:         72
        .size:           8
        .value_kind:     by_value
      - .offset:         80
        .size:           4
        .value_kind:     hidden_block_count_x
      - .offset:         84
        .size:           4
        .value_kind:     hidden_block_count_y
      - .offset:         88
        .size:           4
        .value_kind:     hidden_block_count_z
      - .offset:         92
        .size:           2
        .value_kind:     hidden_group_size_x
      - .offset:         94
        .size:           2
        .value_kind:     hidden_group_size_y
      - .offset:         96
        .size:           2
        .value_kind:     hidden_group_size_z
      - .offset:         98
        .size:           2
        .value_kind:     hidden_remainder_x
      - .offset:         100
        .size:           2
        .value_kind:     hidden_remainder_y
      - .offset:         102
        .size:           2
        .value_kind:     hidden_remainder_z
      - .offset:         120
        .size:           8
        .value_kind:     hidden_global_offset_x
      - .offset:         128
        .size:           8
        .value_kind:     hidden_global_offset_y
      - .offset:         136
        .size:           8
        .value_kind:     hidden_global_offset_z
      - .offset:         144
        .size:           2
        .value_kind:     hidden_grid_dims
    .group_segment_fixed_size: 0
    .kernarg_segment_align: 8
    .kernarg_segment_size: 336
    .language:       OpenCL C
    .language_version:
      - 2
      - 0
    .max_flat_workgroup_size: 1024
    .name:           _ZL13convert_unaryIf14__hip_bfloat16EvPKvPT0_lll15HIP_vector_typeIjLj3EElll
    .private_segment_fixed_size: 0
    .sgpr_count:     41
    .sgpr_spill_count: 0
    .symbol:         _ZL13convert_unaryIf14__hip_bfloat16EvPKvPT0_lll15HIP_vector_typeIjLj3EElll.kd
    .uniform_work_group_size: 1
    .uses_dynamic_stack: false
    .vgpr_count:     15
    .vgpr_spill_count: 0
    .wavefront_size: 64
  - .args:
      - .actual_access:  read_only
        .address_space:  global
        .offset:         0
        .size:           8
        .value_kind:     global_buffer
      - .actual_access:  write_only
        .address_space:  global
        .offset:         8
        .size:           8
        .value_kind:     global_buffer
      - .offset:         16
        .size:           8
        .value_kind:     by_value
      - .offset:         24
        .size:           8
        .value_kind:     by_value
      - .offset:         32
        .size:           8
        .value_kind:     by_value
      - .offset:         40
        .size:           12
        .value_kind:     by_value
      - .offset:         56
        .size:           8
        .value_kind:     by_value
      - .offset:         64
        .size:           8
        .value_kind:     by_value
      - .offset:         72
        .size:           8
        .value_kind:     by_value
      - .offset:         80
        .size:           4
        .value_kind:     hidden_block_count_x
      - .offset:         84
        .size:           4
        .value_kind:     hidden_block_count_y
      - .offset:         88
        .size:           4
        .value_kind:     hidden_block_count_z
      - .offset:         92
        .size:           2
        .value_kind:     hidden_group_size_x
      - .offset:         94
        .size:           2
        .value_kind:     hidden_group_size_y
      - .offset:         96
        .size:           2
        .value_kind:     hidden_group_size_z
      - .offset:         98
        .size:           2
        .value_kind:     hidden_remainder_x
      - .offset:         100
        .size:           2
        .value_kind:     hidden_remainder_y
      - .offset:         102
        .size:           2
        .value_kind:     hidden_remainder_z
      - .offset:         120
        .size:           8
        .value_kind:     hidden_global_offset_x
      - .offset:         128
        .size:           8
        .value_kind:     hidden_global_offset_y
      - .offset:         136
        .size:           8
        .value_kind:     hidden_global_offset_z
      - .offset:         144
        .size:           2
        .value_kind:     hidden_grid_dims
    .group_segment_fixed_size: 0
    .kernarg_segment_align: 8
    .kernarg_segment_size: 336
    .language:       OpenCL C
    .language_version:
      - 2
      - 0
    .max_flat_workgroup_size: 1024
    .name:           _ZL16dequantize_blockILi128ELi1EXadL_ZL15dequantize_q1_0PKvliR15HIP_vector_typeIfLj2EEEE14__hip_bfloat16EvS1_PT2_lllS2_IjLj3EElll
    .private_segment_fixed_size: 0
    .sgpr_count:     45
    .sgpr_spill_count: 0
    .symbol:         _ZL16dequantize_blockILi128ELi1EXadL_ZL15dequantize_q1_0PKvliR15HIP_vector_typeIfLj2EEEE14__hip_bfloat16EvS1_PT2_lllS2_IjLj3EElll.kd
    .uniform_work_group_size: 1
    .uses_dynamic_stack: false
    .vgpr_count:     19
    .vgpr_spill_count: 0
    .wavefront_size: 64
  - .args:
      - .actual_access:  read_only
        .address_space:  global
        .offset:         0
        .size:           8
        .value_kind:     global_buffer
      - .actual_access:  write_only
        .address_space:  global
        .offset:         8
        .size:           8
        .value_kind:     global_buffer
      - .offset:         16
        .size:           8
        .value_kind:     by_value
      - .offset:         24
        .size:           8
        .value_kind:     by_value
      - .offset:         32
        .size:           8
        .value_kind:     by_value
      - .offset:         40
        .size:           12
        .value_kind:     by_value
      - .offset:         56
        .size:           8
        .value_kind:     by_value
      - .offset:         64
        .size:           8
        .value_kind:     by_value
      - .offset:         72
        .size:           8
        .value_kind:     by_value
      - .offset:         80
        .size:           4
        .value_kind:     hidden_block_count_x
      - .offset:         84
        .size:           4
        .value_kind:     hidden_block_count_y
      - .offset:         88
        .size:           4
        .value_kind:     hidden_block_count_z
      - .offset:         92
        .size:           2
        .value_kind:     hidden_group_size_x
      - .offset:         94
        .size:           2
        .value_kind:     hidden_group_size_y
      - .offset:         96
        .size:           2
        .value_kind:     hidden_group_size_z
      - .offset:         98
        .size:           2
        .value_kind:     hidden_remainder_x
      - .offset:         100
        .size:           2
        .value_kind:     hidden_remainder_y
      - .offset:         102
        .size:           2
        .value_kind:     hidden_remainder_z
      - .offset:         120
        .size:           8
        .value_kind:     hidden_global_offset_x
      - .offset:         128
        .size:           8
        .value_kind:     hidden_global_offset_y
      - .offset:         136
        .size:           8
        .value_kind:     hidden_global_offset_z
      - .offset:         144
        .size:           2
        .value_kind:     hidden_grid_dims
    .group_segment_fixed_size: 0
    .kernarg_segment_align: 8
    .kernarg_segment_size: 336
    .language:       OpenCL C
    .language_version:
      - 2
      - 0
    .max_flat_workgroup_size: 1024
    .name:           _ZL16dequantize_blockILi32ELi2EXadL_ZL15dequantize_q4_0PKvliR15HIP_vector_typeIfLj2EEEE14__hip_bfloat16EvS1_PT2_lllS2_IjLj3EElll
    .private_segment_fixed_size: 0
    .sgpr_count:     44
    .sgpr_spill_count: 0
    .symbol:         _ZL16dequantize_blockILi32ELi2EXadL_ZL15dequantize_q4_0PKvliR15HIP_vector_typeIfLj2EEEE14__hip_bfloat16EvS1_PT2_lllS2_IjLj3EElll.kd
    .uniform_work_group_size: 1
    .uses_dynamic_stack: false
    .vgpr_count:     17
    .vgpr_spill_count: 0
    .wavefront_size: 64
  - .args:
      - .actual_access:  read_only
        .address_space:  global
        .offset:         0
        .size:           8
        .value_kind:     global_buffer
      - .actual_access:  write_only
        .address_space:  global
        .offset:         8
        .size:           8
        .value_kind:     global_buffer
      - .offset:         16
        .size:           8
        .value_kind:     by_value
      - .offset:         24
        .size:           8
        .value_kind:     by_value
      - .offset:         32
        .size:           8
        .value_kind:     by_value
      - .offset:         40
        .size:           12
        .value_kind:     by_value
      - .offset:         56
        .size:           8
        .value_kind:     by_value
      - .offset:         64
        .size:           8
        .value_kind:     by_value
      - .offset:         72
        .size:           8
        .value_kind:     by_value
      - .offset:         80
        .size:           4
        .value_kind:     hidden_block_count_x
      - .offset:         84
        .size:           4
        .value_kind:     hidden_block_count_y
      - .offset:         88
        .size:           4
        .value_kind:     hidden_block_count_z
      - .offset:         92
        .size:           2
        .value_kind:     hidden_group_size_x
      - .offset:         94
        .size:           2
        .value_kind:     hidden_group_size_y
      - .offset:         96
        .size:           2
        .value_kind:     hidden_group_size_z
      - .offset:         98
        .size:           2
        .value_kind:     hidden_remainder_x
      - .offset:         100
        .size:           2
        .value_kind:     hidden_remainder_y
      - .offset:         102
        .size:           2
        .value_kind:     hidden_remainder_z
      - .offset:         120
        .size:           8
        .value_kind:     hidden_global_offset_x
      - .offset:         128
        .size:           8
        .value_kind:     hidden_global_offset_y
      - .offset:         136
        .size:           8
        .value_kind:     hidden_global_offset_z
      - .offset:         144
        .size:           2
        .value_kind:     hidden_grid_dims
    .group_segment_fixed_size: 0
    .kernarg_segment_align: 8
    .kernarg_segment_size: 336
    .language:       OpenCL C
    .language_version:
      - 2
      - 0
    .max_flat_workgroup_size: 1024
    .name:           _ZL16dequantize_blockILi32ELi2EXadL_ZL15dequantize_q4_1PKvliR15HIP_vector_typeIfLj2EEEE14__hip_bfloat16EvS1_PT2_lllS2_IjLj3EElll
    .private_segment_fixed_size: 0
    .sgpr_count:     44
    .sgpr_spill_count: 0
    .symbol:         _ZL16dequantize_blockILi32ELi2EXadL_ZL15dequantize_q4_1PKvliR15HIP_vector_typeIfLj2EEEE14__hip_bfloat16EvS1_PT2_lllS2_IjLj3EElll.kd
    .uniform_work_group_size: 1
    .uses_dynamic_stack: false
    .vgpr_count:     17
    .vgpr_spill_count: 0
    .wavefront_size: 64
  - .args:
      - .actual_access:  read_only
        .address_space:  global
        .offset:         0
        .size:           8
        .value_kind:     global_buffer
      - .actual_access:  write_only
        .address_space:  global
        .offset:         8
        .size:           8
        .value_kind:     global_buffer
      - .offset:         16
        .size:           8
        .value_kind:     by_value
      - .offset:         24
        .size:           8
        .value_kind:     by_value
      - .offset:         32
        .size:           8
        .value_kind:     by_value
      - .offset:         40
        .size:           12
        .value_kind:     by_value
      - .offset:         56
        .size:           8
        .value_kind:     by_value
      - .offset:         64
        .size:           8
        .value_kind:     by_value
      - .offset:         72
        .size:           8
        .value_kind:     by_value
      - .offset:         80
        .size:           4
        .value_kind:     hidden_block_count_x
      - .offset:         84
        .size:           4
        .value_kind:     hidden_block_count_y
      - .offset:         88
        .size:           4
        .value_kind:     hidden_block_count_z
      - .offset:         92
        .size:           2
        .value_kind:     hidden_group_size_x
      - .offset:         94
        .size:           2
        .value_kind:     hidden_group_size_y
      - .offset:         96
        .size:           2
        .value_kind:     hidden_group_size_z
      - .offset:         98
        .size:           2
        .value_kind:     hidden_remainder_x
      - .offset:         100
        .size:           2
        .value_kind:     hidden_remainder_y
      - .offset:         102
        .size:           2
        .value_kind:     hidden_remainder_z
      - .offset:         120
        .size:           8
        .value_kind:     hidden_global_offset_x
      - .offset:         128
        .size:           8
        .value_kind:     hidden_global_offset_y
      - .offset:         136
        .size:           8
        .value_kind:     hidden_global_offset_z
      - .offset:         144
        .size:           2
        .value_kind:     hidden_grid_dims
    .group_segment_fixed_size: 0
    .kernarg_segment_align: 8
    .kernarg_segment_size: 336
    .language:       OpenCL C
    .language_version:
      - 2
      - 0
    .max_flat_workgroup_size: 1024
    .name:           _ZL16dequantize_blockILi32ELi2EXadL_ZL15dequantize_q5_0PKvliR15HIP_vector_typeIfLj2EEEE14__hip_bfloat16EvS1_PT2_lllS2_IjLj3EElll
    .private_segment_fixed_size: 0
    .sgpr_count:     47
    .sgpr_spill_count: 0
    .symbol:         _ZL16dequantize_blockILi32ELi2EXadL_ZL15dequantize_q5_0PKvliR15HIP_vector_typeIfLj2EEEE14__hip_bfloat16EvS1_PT2_lllS2_IjLj3EElll.kd
    .uniform_work_group_size: 1
    .uses_dynamic_stack: false
    .vgpr_count:     16
    .vgpr_spill_count: 0
    .wavefront_size: 64
  - .args:
      - .actual_access:  read_only
        .address_space:  global
        .offset:         0
        .size:           8
        .value_kind:     global_buffer
      - .actual_access:  write_only
        .address_space:  global
        .offset:         8
        .size:           8
        .value_kind:     global_buffer
      - .offset:         16
        .size:           8
        .value_kind:     by_value
      - .offset:         24
        .size:           8
        .value_kind:     by_value
      - .offset:         32
        .size:           8
        .value_kind:     by_value
      - .offset:         40
        .size:           12
        .value_kind:     by_value
      - .offset:         56
        .size:           8
        .value_kind:     by_value
      - .offset:         64
        .size:           8
        .value_kind:     by_value
      - .offset:         72
        .size:           8
        .value_kind:     by_value
      - .offset:         80
        .size:           4
        .value_kind:     hidden_block_count_x
      - .offset:         84
        .size:           4
        .value_kind:     hidden_block_count_y
      - .offset:         88
        .size:           4
        .value_kind:     hidden_block_count_z
      - .offset:         92
        .size:           2
        .value_kind:     hidden_group_size_x
      - .offset:         94
        .size:           2
        .value_kind:     hidden_group_size_y
      - .offset:         96
        .size:           2
        .value_kind:     hidden_group_size_z
      - .offset:         98
        .size:           2
        .value_kind:     hidden_remainder_x
      - .offset:         100
        .size:           2
        .value_kind:     hidden_remainder_y
      - .offset:         102
        .size:           2
        .value_kind:     hidden_remainder_z
      - .offset:         120
        .size:           8
        .value_kind:     hidden_global_offset_x
      - .offset:         128
        .size:           8
        .value_kind:     hidden_global_offset_y
      - .offset:         136
        .size:           8
        .value_kind:     hidden_global_offset_z
      - .offset:         144
        .size:           2
        .value_kind:     hidden_grid_dims
    .group_segment_fixed_size: 0
    .kernarg_segment_align: 8
    .kernarg_segment_size: 336
    .language:       OpenCL C
    .language_version:
      - 2
      - 0
    .max_flat_workgroup_size: 1024
    .name:           _ZL16dequantize_blockILi32ELi2EXadL_ZL15dequantize_q5_1PKvliR15HIP_vector_typeIfLj2EEEE14__hip_bfloat16EvS1_PT2_lllS2_IjLj3EElll
    .private_segment_fixed_size: 0
    .sgpr_count:     44
    .sgpr_spill_count: 0
    .symbol:         _ZL16dequantize_blockILi32ELi2EXadL_ZL15dequantize_q5_1PKvliR15HIP_vector_typeIfLj2EEEE14__hip_bfloat16EvS1_PT2_lllS2_IjLj3EElll.kd
    .uniform_work_group_size: 1
    .uses_dynamic_stack: false
    .vgpr_count:     18
    .vgpr_spill_count: 0
    .wavefront_size: 64
  - .args:
      - .actual_access:  read_only
        .address_space:  global
        .offset:         0
        .size:           8
        .value_kind:     global_buffer
      - .actual_access:  write_only
        .address_space:  global
        .offset:         8
        .size:           8
        .value_kind:     global_buffer
      - .offset:         16
        .size:           8
        .value_kind:     by_value
      - .offset:         24
        .size:           8
        .value_kind:     by_value
      - .offset:         32
        .size:           8
        .value_kind:     by_value
      - .offset:         40
        .size:           12
        .value_kind:     by_value
      - .offset:         56
        .size:           8
        .value_kind:     by_value
      - .offset:         64
        .size:           8
        .value_kind:     by_value
      - .offset:         72
        .size:           8
        .value_kind:     by_value
      - .offset:         80
        .size:           4
        .value_kind:     hidden_block_count_x
      - .offset:         84
        .size:           4
        .value_kind:     hidden_block_count_y
      - .offset:         88
        .size:           4
        .value_kind:     hidden_block_count_z
      - .offset:         92
        .size:           2
        .value_kind:     hidden_group_size_x
      - .offset:         94
        .size:           2
        .value_kind:     hidden_group_size_y
      - .offset:         96
        .size:           2
        .value_kind:     hidden_group_size_z
      - .offset:         98
        .size:           2
        .value_kind:     hidden_remainder_x
      - .offset:         100
        .size:           2
        .value_kind:     hidden_remainder_y
      - .offset:         102
        .size:           2
        .value_kind:     hidden_remainder_z
      - .offset:         120
        .size:           8
        .value_kind:     hidden_global_offset_x
      - .offset:         128
        .size:           8
        .value_kind:     hidden_global_offset_y
      - .offset:         136
        .size:           8
        .value_kind:     hidden_global_offset_z
      - .offset:         144
        .size:           2
        .value_kind:     hidden_grid_dims
    .group_segment_fixed_size: 0
    .kernarg_segment_align: 8
    .kernarg_segment_size: 336
    .language:       OpenCL C
    .language_version:
      - 2
      - 0
    .max_flat_workgroup_size: 1024
    .name:           _ZL16dequantize_blockILi32ELi1EXadL_ZL15dequantize_q8_0PKvliR15HIP_vector_typeIfLj2EEEE14__hip_bfloat16EvS1_PT2_lllS2_IjLj3EElll
    .private_segment_fixed_size: 0
    .sgpr_count:     47
    .sgpr_spill_count: 0
    .symbol:         _ZL16dequantize_blockILi32ELi1EXadL_ZL15dequantize_q8_0PKvliR15HIP_vector_typeIfLj2EEEE14__hip_bfloat16EvS1_PT2_lllS2_IjLj3EElll.kd
    .uniform_work_group_size: 1
    .uses_dynamic_stack: false
    .vgpr_count:     15
    .vgpr_spill_count: 0
    .wavefront_size: 64
  - .args:
      - .actual_access:  read_only
        .address_space:  global
        .offset:         0
        .size:           8
        .value_kind:     global_buffer
      - .actual_access:  write_only
        .address_space:  global
        .offset:         8
        .size:           8
        .value_kind:     global_buffer
      - .offset:         16
        .size:           8
        .value_kind:     by_value
      - .offset:         24
        .size:           8
        .value_kind:     by_value
      - .offset:         32
        .size:           8
        .value_kind:     by_value
      - .offset:         40
        .size:           12
        .value_kind:     by_value
      - .offset:         56
        .size:           8
        .value_kind:     by_value
      - .offset:         64
        .size:           8
        .value_kind:     by_value
      - .offset:         72
        .size:           8
        .value_kind:     by_value
      - .offset:         80
        .size:           4
        .value_kind:     hidden_block_count_x
      - .offset:         84
        .size:           4
        .value_kind:     hidden_block_count_y
      - .offset:         88
        .size:           4
        .value_kind:     hidden_block_count_z
      - .offset:         92
        .size:           2
        .value_kind:     hidden_group_size_x
      - .offset:         94
        .size:           2
        .value_kind:     hidden_group_size_y
      - .offset:         96
        .size:           2
        .value_kind:     hidden_group_size_z
      - .offset:         98
        .size:           2
        .value_kind:     hidden_remainder_x
      - .offset:         100
        .size:           2
        .value_kind:     hidden_remainder_y
      - .offset:         102
        .size:           2
        .value_kind:     hidden_remainder_z
      - .offset:         120
        .size:           8
        .value_kind:     hidden_global_offset_x
      - .offset:         128
        .size:           8
        .value_kind:     hidden_global_offset_y
      - .offset:         136
        .size:           8
        .value_kind:     hidden_global_offset_z
      - .offset:         144
        .size:           2
        .value_kind:     hidden_grid_dims
    .group_segment_fixed_size: 0
    .kernarg_segment_align: 8
    .kernarg_segment_size: 336
    .language:       OpenCL C
    .language_version:
      - 2
      - 0
    .max_flat_workgroup_size: 1024
    .name:           _ZL13convert_unaryI6__half14__hip_bfloat16EvPKvPT0_lll15HIP_vector_typeIjLj3EElll
    .private_segment_fixed_size: 0
    .sgpr_count:     91
    .sgpr_spill_count: 0
    .symbol:         _ZL13convert_unaryI6__half14__hip_bfloat16EvPKvPT0_lll15HIP_vector_typeIjLj3EElll.kd
    .uniform_work_group_size: 1
    .uses_dynamic_stack: false
    .vgpr_count:     18
    .vgpr_spill_count: 0
    .wavefront_size: 64
  - .args:
      - .actual_access:  read_only
        .address_space:  global
        .offset:         0
        .size:           8
        .value_kind:     global_buffer
      - .actual_access:  write_only
        .address_space:  global
        .offset:         8
        .size:           8
        .value_kind:     global_buffer
      - .offset:         16
        .size:           8
        .value_kind:     by_value
      - .offset:         24
        .size:           8
        .value_kind:     by_value
      - .offset:         32
        .size:           8
        .value_kind:     by_value
      - .offset:         40
        .size:           12
        .value_kind:     by_value
      - .offset:         56
        .size:           8
        .value_kind:     by_value
      - .offset:         64
        .size:           8
        .value_kind:     by_value
      - .offset:         72
        .size:           8
        .value_kind:     by_value
      - .offset:         80
        .size:           4
        .value_kind:     hidden_block_count_x
      - .offset:         84
        .size:           4
        .value_kind:     hidden_block_count_y
      - .offset:         88
        .size:           4
        .value_kind:     hidden_block_count_z
      - .offset:         92
        .size:           2
        .value_kind:     hidden_group_size_x
      - .offset:         94
        .size:           2
        .value_kind:     hidden_group_size_y
      - .offset:         96
        .size:           2
        .value_kind:     hidden_group_size_z
      - .offset:         98
        .size:           2
        .value_kind:     hidden_remainder_x
      - .offset:         100
        .size:           2
        .value_kind:     hidden_remainder_y
      - .offset:         102
        .size:           2
        .value_kind:     hidden_remainder_z
      - .offset:         120
        .size:           8
        .value_kind:     hidden_global_offset_x
      - .offset:         128
        .size:           8
        .value_kind:     hidden_global_offset_y
      - .offset:         136
        .size:           8
        .value_kind:     hidden_global_offset_z
      - .offset:         144
        .size:           2
        .value_kind:     hidden_grid_dims
    .group_segment_fixed_size: 0
    .kernarg_segment_align: 8
    .kernarg_segment_size: 336
    .language:       OpenCL C
    .language_version:
      - 2
      - 0
    .max_flat_workgroup_size: 1024
    .name:           _ZL13convert_unaryI6__halffEvPKvPT0_lll15HIP_vector_typeIjLj3EElll
    .private_segment_fixed_size: 0
    .sgpr_count:     40
    .sgpr_spill_count: 0
    .symbol:         _ZL13convert_unaryI6__halffEvPKvPT0_lll15HIP_vector_typeIjLj3EElll.kd
    .uniform_work_group_size: 1
    .uses_dynamic_stack: false
    .vgpr_count:     14
    .vgpr_spill_count: 0
    .wavefront_size: 64
  - .args:
      - .actual_access:  read_only
        .address_space:  global
        .offset:         0
        .size:           8
        .value_kind:     global_buffer
      - .actual_access:  write_only
        .address_space:  global
        .offset:         8
        .size:           8
        .value_kind:     global_buffer
      - .offset:         16
        .size:           8
        .value_kind:     by_value
      - .offset:         24
        .size:           8
        .value_kind:     by_value
      - .offset:         32
        .size:           8
        .value_kind:     by_value
      - .offset:         40
        .size:           12
        .value_kind:     by_value
      - .offset:         56
        .size:           8
        .value_kind:     by_value
      - .offset:         64
        .size:           8
        .value_kind:     by_value
      - .offset:         72
        .size:           8
        .value_kind:     by_value
      - .offset:         80
        .size:           4
        .value_kind:     hidden_block_count_x
      - .offset:         84
        .size:           4
        .value_kind:     hidden_block_count_y
      - .offset:         88
        .size:           4
        .value_kind:     hidden_block_count_z
      - .offset:         92
        .size:           2
        .value_kind:     hidden_group_size_x
      - .offset:         94
        .size:           2
        .value_kind:     hidden_group_size_y
      - .offset:         96
        .size:           2
        .value_kind:     hidden_group_size_z
      - .offset:         98
        .size:           2
        .value_kind:     hidden_remainder_x
      - .offset:         100
        .size:           2
        .value_kind:     hidden_remainder_y
      - .offset:         102
        .size:           2
        .value_kind:     hidden_remainder_z
      - .offset:         120
        .size:           8
        .value_kind:     hidden_global_offset_x
      - .offset:         128
        .size:           8
        .value_kind:     hidden_global_offset_y
      - .offset:         136
        .size:           8
        .value_kind:     hidden_global_offset_z
      - .offset:         144
        .size:           2
        .value_kind:     hidden_grid_dims
    .group_segment_fixed_size: 0
    .kernarg_segment_align: 8
    .kernarg_segment_size: 336
    .language:       OpenCL C
    .language_version:
      - 2
      - 0
    .max_flat_workgroup_size: 1024
    .name:           _ZL16dequantize_blockILi128ELi1EXadL_ZL15dequantize_q1_0PKvliR15HIP_vector_typeIfLj2EEEEfEvS1_PT2_lllS2_IjLj3EElll
    .private_segment_fixed_size: 0
    .sgpr_count:     43
    .sgpr_spill_count: 0
    .symbol:         _ZL16dequantize_blockILi128ELi1EXadL_ZL15dequantize_q1_0PKvliR15HIP_vector_typeIfLj2EEEEfEvS1_PT2_lllS2_IjLj3EElll.kd
    .uniform_work_group_size: 1
    .uses_dynamic_stack: false
    .vgpr_count:     18
    .vgpr_spill_count: 0
    .wavefront_size: 64
  - .args:
      - .actual_access:  read_only
        .address_space:  global
        .offset:         0
        .size:           8
        .value_kind:     global_buffer
      - .actual_access:  write_only
        .address_space:  global
        .offset:         8
        .size:           8
        .value_kind:     global_buffer
      - .offset:         16
        .size:           8
        .value_kind:     by_value
      - .offset:         24
        .size:           8
        .value_kind:     by_value
      - .offset:         32
        .size:           8
        .value_kind:     by_value
      - .offset:         40
        .size:           12
        .value_kind:     by_value
      - .offset:         56
        .size:           8
        .value_kind:     by_value
      - .offset:         64
        .size:           8
        .value_kind:     by_value
      - .offset:         72
        .size:           8
        .value_kind:     by_value
      - .offset:         80
        .size:           4
        .value_kind:     hidden_block_count_x
      - .offset:         84
        .size:           4
        .value_kind:     hidden_block_count_y
      - .offset:         88
        .size:           4
        .value_kind:     hidden_block_count_z
      - .offset:         92
        .size:           2
        .value_kind:     hidden_group_size_x
      - .offset:         94
        .size:           2
        .value_kind:     hidden_group_size_y
      - .offset:         96
        .size:           2
        .value_kind:     hidden_group_size_z
      - .offset:         98
        .size:           2
        .value_kind:     hidden_remainder_x
      - .offset:         100
        .size:           2
        .value_kind:     hidden_remainder_y
      - .offset:         102
        .size:           2
        .value_kind:     hidden_remainder_z
      - .offset:         120
        .size:           8
        .value_kind:     hidden_global_offset_x
      - .offset:         128
        .size:           8
        .value_kind:     hidden_global_offset_y
      - .offset:         136
        .size:           8
        .value_kind:     hidden_global_offset_z
      - .offset:         144
        .size:           2
        .value_kind:     hidden_grid_dims
    .group_segment_fixed_size: 0
    .kernarg_segment_align: 8
    .kernarg_segment_size: 336
    .language:       OpenCL C
    .language_version:
      - 2
      - 0
    .max_flat_workgroup_size: 1024
    .name:           _ZL16dequantize_blockILi32ELi2EXadL_ZL15dequantize_q4_0PKvliR15HIP_vector_typeIfLj2EEEEfEvS1_PT2_lllS2_IjLj3EElll
    .private_segment_fixed_size: 0
    .sgpr_count:     43
    .sgpr_spill_count: 0
    .symbol:         _ZL16dequantize_blockILi32ELi2EXadL_ZL15dequantize_q4_0PKvliR15HIP_vector_typeIfLj2EEEEfEvS1_PT2_lllS2_IjLj3EElll.kd
    .uniform_work_group_size: 1
    .uses_dynamic_stack: false
    .vgpr_count:     16
    .vgpr_spill_count: 0
    .wavefront_size: 64
  - .args:
      - .actual_access:  read_only
        .address_space:  global
        .offset:         0
        .size:           8
        .value_kind:     global_buffer
      - .actual_access:  write_only
        .address_space:  global
        .offset:         8
        .size:           8
        .value_kind:     global_buffer
      - .offset:         16
        .size:           8
        .value_kind:     by_value
      - .offset:         24
        .size:           8
        .value_kind:     by_value
      - .offset:         32
        .size:           8
        .value_kind:     by_value
      - .offset:         40
        .size:           12
        .value_kind:     by_value
      - .offset:         56
        .size:           8
        .value_kind:     by_value
      - .offset:         64
        .size:           8
        .value_kind:     by_value
      - .offset:         72
        .size:           8
        .value_kind:     by_value
      - .offset:         80
        .size:           4
        .value_kind:     hidden_block_count_x
      - .offset:         84
        .size:           4
        .value_kind:     hidden_block_count_y
      - .offset:         88
        .size:           4
        .value_kind:     hidden_block_count_z
      - .offset:         92
        .size:           2
        .value_kind:     hidden_group_size_x
      - .offset:         94
        .size:           2
        .value_kind:     hidden_group_size_y
      - .offset:         96
        .size:           2
        .value_kind:     hidden_group_size_z
      - .offset:         98
        .size:           2
        .value_kind:     hidden_remainder_x
      - .offset:         100
        .size:           2
        .value_kind:     hidden_remainder_y
      - .offset:         102
        .size:           2
        .value_kind:     hidden_remainder_z
      - .offset:         120
        .size:           8
        .value_kind:     hidden_global_offset_x
      - .offset:         128
        .size:           8
        .value_kind:     hidden_global_offset_y
      - .offset:         136
        .size:           8
        .value_kind:     hidden_global_offset_z
      - .offset:         144
        .size:           2
        .value_kind:     hidden_grid_dims
    .group_segment_fixed_size: 0
    .kernarg_segment_align: 8
    .kernarg_segment_size: 336
    .language:       OpenCL C
    .language_version:
      - 2
      - 0
    .max_flat_workgroup_size: 1024
    .name:           _ZL16dequantize_blockILi32ELi2EXadL_ZL15dequantize_q4_1PKvliR15HIP_vector_typeIfLj2EEEEfEvS1_PT2_lllS2_IjLj3EElll
    .private_segment_fixed_size: 0
    .sgpr_count:     43
    .sgpr_spill_count: 0
    .symbol:         _ZL16dequantize_blockILi32ELi2EXadL_ZL15dequantize_q4_1PKvliR15HIP_vector_typeIfLj2EEEEfEvS1_PT2_lllS2_IjLj3EElll.kd
    .uniform_work_group_size: 1
    .uses_dynamic_stack: false
    .vgpr_count:     16
    .vgpr_spill_count: 0
    .wavefront_size: 64
  - .args:
      - .actual_access:  read_only
        .address_space:  global
        .offset:         0
        .size:           8
        .value_kind:     global_buffer
      - .actual_access:  write_only
        .address_space:  global
        .offset:         8
        .size:           8
        .value_kind:     global_buffer
      - .offset:         16
        .size:           8
        .value_kind:     by_value
      - .offset:         24
        .size:           8
        .value_kind:     by_value
      - .offset:         32
        .size:           8
        .value_kind:     by_value
      - .offset:         40
        .size:           12
        .value_kind:     by_value
      - .offset:         56
        .size:           8
        .value_kind:     by_value
      - .offset:         64
        .size:           8
        .value_kind:     by_value
      - .offset:         72
        .size:           8
        .value_kind:     by_value
      - .offset:         80
        .size:           4
        .value_kind:     hidden_block_count_x
      - .offset:         84
        .size:           4
        .value_kind:     hidden_block_count_y
      - .offset:         88
        .size:           4
        .value_kind:     hidden_block_count_z
      - .offset:         92
        .size:           2
        .value_kind:     hidden_group_size_x
      - .offset:         94
        .size:           2
        .value_kind:     hidden_group_size_y
      - .offset:         96
        .size:           2
        .value_kind:     hidden_group_size_z
      - .offset:         98
        .size:           2
        .value_kind:     hidden_remainder_x
      - .offset:         100
        .size:           2
        .value_kind:     hidden_remainder_y
      - .offset:         102
        .size:           2
        .value_kind:     hidden_remainder_z
      - .offset:         120
        .size:           8
        .value_kind:     hidden_global_offset_x
      - .offset:         128
        .size:           8
        .value_kind:     hidden_global_offset_y
      - .offset:         136
        .size:           8
        .value_kind:     hidden_global_offset_z
      - .offset:         144
        .size:           2
        .value_kind:     hidden_grid_dims
    .group_segment_fixed_size: 0
    .kernarg_segment_align: 8
    .kernarg_segment_size: 336
    .language:       OpenCL C
    .language_version:
      - 2
      - 0
    .max_flat_workgroup_size: 1024
    .name:           _ZL16dequantize_blockILi32ELi2EXadL_ZL15dequantize_q5_0PKvliR15HIP_vector_typeIfLj2EEEEfEvS1_PT2_lllS2_IjLj3EElll
    .private_segment_fixed_size: 0
    .sgpr_count:     44
    .sgpr_spill_count: 0
    .symbol:         _ZL16dequantize_blockILi32ELi2EXadL_ZL15dequantize_q5_0PKvliR15HIP_vector_typeIfLj2EEEEfEvS1_PT2_lllS2_IjLj3EElll.kd
    .uniform_work_group_size: 1
    .uses_dynamic_stack: false
    .vgpr_count:     18
    .vgpr_spill_count: 0
    .wavefront_size: 64
  - .args:
      - .actual_access:  read_only
        .address_space:  global
        .offset:         0
        .size:           8
        .value_kind:     global_buffer
      - .actual_access:  write_only
        .address_space:  global
        .offset:         8
        .size:           8
        .value_kind:     global_buffer
      - .offset:         16
        .size:           8
        .value_kind:     by_value
      - .offset:         24
        .size:           8
        .value_kind:     by_value
      - .offset:         32
        .size:           8
        .value_kind:     by_value
      - .offset:         40
        .size:           12
        .value_kind:     by_value
      - .offset:         56
        .size:           8
        .value_kind:     by_value
      - .offset:         64
        .size:           8
        .value_kind:     by_value
      - .offset:         72
        .size:           8
        .value_kind:     by_value
      - .offset:         80
        .size:           4
        .value_kind:     hidden_block_count_x
      - .offset:         84
        .size:           4
        .value_kind:     hidden_block_count_y
      - .offset:         88
        .size:           4
        .value_kind:     hidden_block_count_z
      - .offset:         92
        .size:           2
        .value_kind:     hidden_group_size_x
      - .offset:         94
        .size:           2
        .value_kind:     hidden_group_size_y
      - .offset:         96
        .size:           2
        .value_kind:     hidden_group_size_z
      - .offset:         98
        .size:           2
        .value_kind:     hidden_remainder_x
      - .offset:         100
        .size:           2
        .value_kind:     hidden_remainder_y
      - .offset:         102
        .size:           2
        .value_kind:     hidden_remainder_z
      - .offset:         120
        .size:           8
        .value_kind:     hidden_global_offset_x
      - .offset:         128
        .size:           8
        .value_kind:     hidden_global_offset_y
      - .offset:         136
        .size:           8
        .value_kind:     hidden_global_offset_z
      - .offset:         144
        .size:           2
        .value_kind:     hidden_grid_dims
    .group_segment_fixed_size: 0
    .kernarg_segment_align: 8
    .kernarg_segment_size: 336
    .language:       OpenCL C
    .language_version:
      - 2
      - 0
    .max_flat_workgroup_size: 1024
    .name:           _ZL16dequantize_blockILi32ELi2EXadL_ZL15dequantize_q5_1PKvliR15HIP_vector_typeIfLj2EEEEfEvS1_PT2_lllS2_IjLj3EElll
    .private_segment_fixed_size: 0
    .sgpr_count:     43
    .sgpr_spill_count: 0
    .symbol:         _ZL16dequantize_blockILi32ELi2EXadL_ZL15dequantize_q5_1PKvliR15HIP_vector_typeIfLj2EEEEfEvS1_PT2_lllS2_IjLj3EElll.kd
    .uniform_work_group_size: 1
    .uses_dynamic_stack: false
    .vgpr_count:     18
    .vgpr_spill_count: 0
    .wavefront_size: 64
  - .args:
      - .actual_access:  read_only
        .address_space:  global
        .offset:         0
        .size:           8
        .value_kind:     global_buffer
      - .actual_access:  write_only
        .address_space:  global
        .offset:         8
        .size:           8
        .value_kind:     global_buffer
      - .offset:         16
        .size:           8
        .value_kind:     by_value
      - .offset:         24
        .size:           8
        .value_kind:     by_value
      - .offset:         32
        .size:           8
        .value_kind:     by_value
      - .offset:         40
        .size:           12
        .value_kind:     by_value
      - .offset:         56
        .size:           8
        .value_kind:     by_value
      - .offset:         64
        .size:           8
        .value_kind:     by_value
      - .offset:         72
        .size:           8
        .value_kind:     by_value
      - .offset:         80
        .size:           4
        .value_kind:     hidden_block_count_x
      - .offset:         84
        .size:           4
        .value_kind:     hidden_block_count_y
      - .offset:         88
        .size:           4
        .value_kind:     hidden_block_count_z
      - .offset:         92
        .size:           2
        .value_kind:     hidden_group_size_x
      - .offset:         94
        .size:           2
        .value_kind:     hidden_group_size_y
      - .offset:         96
        .size:           2
        .value_kind:     hidden_group_size_z
      - .offset:         98
        .size:           2
        .value_kind:     hidden_remainder_x
      - .offset:         100
        .size:           2
        .value_kind:     hidden_remainder_y
      - .offset:         102
        .size:           2
        .value_kind:     hidden_remainder_z
      - .offset:         120
        .size:           8
        .value_kind:     hidden_global_offset_x
      - .offset:         128
        .size:           8
        .value_kind:     hidden_global_offset_y
      - .offset:         136
        .size:           8
        .value_kind:     hidden_global_offset_z
      - .offset:         144
        .size:           2
        .value_kind:     hidden_grid_dims
    .group_segment_fixed_size: 0
    .kernarg_segment_align: 8
    .kernarg_segment_size: 336
    .language:       OpenCL C
    .language_version:
      - 2
      - 0
    .max_flat_workgroup_size: 1024
    .name:           _ZL16dequantize_blockILi32ELi1EXadL_ZL15dequantize_q8_0PKvliR15HIP_vector_typeIfLj2EEEEfEvS1_PT2_lllS2_IjLj3EElll
    .private_segment_fixed_size: 0
    .sgpr_count:     45
    .sgpr_spill_count: 0
    .symbol:         _ZL16dequantize_blockILi32ELi1EXadL_ZL15dequantize_q8_0PKvliR15HIP_vector_typeIfLj2EEEEfEvS1_PT2_lllS2_IjLj3EElll.kd
    .uniform_work_group_size: 1
    .uses_dynamic_stack: false
    .vgpr_count:     14
    .vgpr_spill_count: 0
    .wavefront_size: 64
  - .args:
      - .actual_access:  read_only
        .address_space:  global
        .offset:         0
        .size:           8
        .value_kind:     global_buffer
      - .actual_access:  write_only
        .address_space:  global
        .offset:         8
        .size:           8
        .value_kind:     global_buffer
      - .offset:         16
        .size:           8
        .value_kind:     by_value
      - .offset:         24
        .size:           8
        .value_kind:     by_value
      - .offset:         32
        .size:           8
        .value_kind:     by_value
      - .offset:         40
        .size:           12
        .value_kind:     by_value
      - .offset:         56
        .size:           8
        .value_kind:     by_value
      - .offset:         64
        .size:           8
        .value_kind:     by_value
      - .offset:         72
        .size:           8
        .value_kind:     by_value
      - .offset:         80
        .size:           4
        .value_kind:     hidden_block_count_x
      - .offset:         84
        .size:           4
        .value_kind:     hidden_block_count_y
      - .offset:         88
        .size:           4
        .value_kind:     hidden_block_count_z
      - .offset:         92
        .size:           2
        .value_kind:     hidden_group_size_x
      - .offset:         94
        .size:           2
        .value_kind:     hidden_group_size_y
      - .offset:         96
        .size:           2
        .value_kind:     hidden_group_size_z
      - .offset:         98
        .size:           2
        .value_kind:     hidden_remainder_x
      - .offset:         100
        .size:           2
        .value_kind:     hidden_remainder_y
      - .offset:         102
        .size:           2
        .value_kind:     hidden_remainder_z
      - .offset:         120
        .size:           8
        .value_kind:     hidden_global_offset_x
      - .offset:         128
        .size:           8
        .value_kind:     hidden_global_offset_y
      - .offset:         136
        .size:           8
        .value_kind:     hidden_global_offset_z
      - .offset:         144
        .size:           2
        .value_kind:     hidden_grid_dims
    .group_segment_fixed_size: 0
    .kernarg_segment_align: 8
    .kernarg_segment_size: 336
    .language:       OpenCL C
    .language_version:
      - 2
      - 0
    .max_flat_workgroup_size: 1024
    .name:           _ZL13convert_unaryI14__hip_bfloat16fEvPKvPT0_lll15HIP_vector_typeIjLj3EElll
    .private_segment_fixed_size: 0
    .sgpr_count:     40
    .sgpr_spill_count: 0
    .symbol:         _ZL13convert_unaryI14__hip_bfloat16fEvPKvPT0_lll15HIP_vector_typeIjLj3EElll.kd
    .uniform_work_group_size: 1
    .uses_dynamic_stack: false
    .vgpr_count:     14
    .vgpr_spill_count: 0
    .wavefront_size: 64
amdhsa.target:   amdgcn-amd-amdhsa--gfx906
amdhsa.version:
  - 1
  - 2
...

	.end_amdgpu_metadata
